;; amdgpu-corpus repo=ROCm/rocFFT kind=compiled arch=gfx906 opt=O3
	.text
	.amdgcn_target "amdgcn-amd-amdhsa--gfx906"
	.amdhsa_code_object_version 6
	.protected	bluestein_single_fwd_len1980_dim1_sp_op_CI_CI ; -- Begin function bluestein_single_fwd_len1980_dim1_sp_op_CI_CI
	.globl	bluestein_single_fwd_len1980_dim1_sp_op_CI_CI
	.p2align	8
	.type	bluestein_single_fwd_len1980_dim1_sp_op_CI_CI,@function
bluestein_single_fwd_len1980_dim1_sp_op_CI_CI: ; @bluestein_single_fwd_len1980_dim1_sp_op_CI_CI
; %bb.0:
	s_load_dwordx4 s[0:3], s[4:5], 0x28
	v_mul_u32_u24_e32 v1, 0x14b, v0
	v_add_u32_sdwa v60, s6, v1 dst_sel:DWORD dst_unused:UNUSED_PAD src0_sel:DWORD src1_sel:WORD_1
	v_mov_b32_e32 v61, 0
	s_waitcnt lgkmcnt(0)
	v_cmp_gt_u64_e32 vcc, s[0:1], v[60:61]
	s_and_saveexec_b64 s[0:1], vcc
	s_cbranch_execz .LBB0_31
; %bb.1:
	s_load_dwordx2 s[10:11], s[4:5], 0x0
	s_load_dwordx2 s[8:9], s[4:5], 0x38
	s_movk_i32 s0, 0xc6
	v_mul_lo_u16_sdwa v1, v1, s0 dst_sel:DWORD dst_unused:UNUSED_PAD src0_sel:WORD_1 src1_sel:DWORD
	v_sub_u16_e32 v88, v0, v1
	s_movk_i32 s0, 0xb4
	v_cmp_gt_u16_e64 s[0:1], s0, v88
	v_lshlrev_b32_e32 v87, 3, v88
	s_and_saveexec_b64 s[6:7], s[0:1]
	s_cbranch_execz .LBB0_3
; %bb.2:
	s_load_dwordx2 s[12:13], s[4:5], 0x18
	s_waitcnt lgkmcnt(0)
	s_load_dwordx4 s[12:15], s[12:13], 0x0
	s_waitcnt lgkmcnt(0)
	v_mad_u64_u32 v[0:1], s[16:17], s14, v60, 0
	v_mad_u64_u32 v[2:3], s[16:17], s12, v88, 0
	;; [unrolled: 1-line block ×4, first 2 shown]
	v_mov_b32_e32 v1, v4
	v_lshlrev_b64 v[0:1], 3, v[0:1]
	v_mov_b32_e32 v3, v5
	v_mov_b32_e32 v6, s3
	v_lshlrev_b64 v[2:3], 3, v[2:3]
	v_add_co_u32_e32 v0, vcc, s2, v0
	v_addc_co_u32_e32 v1, vcc, v6, v1, vcc
	v_add_co_u32_e32 v0, vcc, v0, v2
	v_addc_co_u32_e32 v1, vcc, v1, v3, vcc
	v_mov_b32_e32 v2, s11
	v_add_co_u32_e32 v40, vcc, s10, v87
	s_mul_i32 s2, s13, 0x5a0
	s_mul_hi_u32 s3, s12, 0x5a0
	v_addc_co_u32_e32 v41, vcc, 0, v2, vcc
	s_add_i32 s2, s3, s2
	s_mul_i32 s3, s12, 0x5a0
	v_mov_b32_e32 v3, s2
	v_add_co_u32_e32 v2, vcc, s3, v0
	v_addc_co_u32_e32 v3, vcc, v1, v3, vcc
	v_mov_b32_e32 v5, s2
	v_add_co_u32_e32 v4, vcc, s3, v2
	v_addc_co_u32_e32 v5, vcc, v3, v5, vcc
	v_mov_b32_e32 v13, s2
	v_add_co_u32_e32 v12, vcc, s3, v4
	v_addc_co_u32_e32 v13, vcc, v5, v13, vcc
	s_movk_i32 s12, 0x1000
	global_load_dwordx2 v[6:7], v87, s[10:11]
	global_load_dwordx2 v[8:9], v87, s[10:11] offset:1440
	global_load_dwordx2 v[10:11], v87, s[10:11] offset:2880
	global_load_dwordx2 v[14:15], v[0:1], off
	global_load_dwordx2 v[16:17], v[2:3], off
	;; [unrolled: 1-line block ×4, first 2 shown]
	v_add_co_u32_e32 v0, vcc, s12, v40
	v_addc_co_u32_e32 v1, vcc, 0, v41, vcc
	v_mov_b32_e32 v3, s2
	v_add_co_u32_e32 v2, vcc, s3, v12
	v_addc_co_u32_e32 v3, vcc, v13, v3, vcc
	global_load_dwordx2 v[4:5], v[2:3], off
	v_mov_b32_e32 v12, s2
	v_add_co_u32_e32 v2, vcc, s3, v2
	v_addc_co_u32_e32 v3, vcc, v3, v12, vcc
	global_load_dwordx2 v[12:13], v[2:3], off
	global_load_dwordx2 v[22:23], v[0:1], off offset:224
	global_load_dwordx2 v[24:25], v[0:1], off offset:1664
	;; [unrolled: 1-line block ×3, first 2 shown]
	v_mov_b32_e32 v1, s2
	v_add_co_u32_e32 v0, vcc, s3, v2
	v_addc_co_u32_e32 v1, vcc, v3, v1, vcc
	s_movk_i32 s12, 0x2000
	v_add_co_u32_e32 v28, vcc, s12, v40
	v_addc_co_u32_e32 v29, vcc, 0, v41, vcc
	global_load_dwordx2 v[2:3], v[0:1], off
	v_mov_b32_e32 v30, s2
	v_add_co_u32_e32 v0, vcc, s3, v0
	v_addc_co_u32_e32 v1, vcc, v1, v30, vcc
	global_load_dwordx2 v[30:31], v[0:1], off
	v_mov_b32_e32 v32, s2
	v_add_co_u32_e32 v0, vcc, s3, v0
	v_addc_co_u32_e32 v1, vcc, v1, v32, vcc
	global_load_dwordx2 v[32:33], v[0:1], off
	global_load_dwordx2 v[34:35], v[28:29], off offset:448
	global_load_dwordx2 v[36:37], v[28:29], off offset:1888
	;; [unrolled: 1-line block ×3, first 2 shown]
	v_mov_b32_e32 v28, s2
	v_add_co_u32_e32 v0, vcc, s3, v0
	v_addc_co_u32_e32 v1, vcc, v1, v28, vcc
	s_movk_i32 s12, 0x3000
	v_add_co_u32_e32 v40, vcc, s12, v40
	v_addc_co_u32_e32 v41, vcc, 0, v41, vcc
	global_load_dwordx2 v[28:29], v[0:1], off
	global_load_dwordx2 v[42:43], v[40:41], off offset:672
	v_mov_b32_e32 v44, s2
	v_add_co_u32_e32 v0, vcc, s3, v0
	v_addc_co_u32_e32 v1, vcc, v1, v44, vcc
	global_load_dwordx2 v[44:45], v[0:1], off
	global_load_dwordx2 v[46:47], v[40:41], off offset:2112
	s_waitcnt vmcnt(18)
	v_mul_f32_e32 v0, v15, v7
	v_mul_f32_e32 v1, v14, v7
	v_fmac_f32_e32 v0, v14, v6
	v_fma_f32 v1, v15, v6, -v1
	s_waitcnt vmcnt(17)
	v_mul_f32_e32 v6, v17, v9
	v_mul_f32_e32 v7, v16, v9
	v_fmac_f32_e32 v6, v16, v8
	v_fma_f32 v7, v17, v8, -v7
	ds_write2_b64 v87, v[0:1], v[6:7] offset1:180
	s_waitcnt vmcnt(16)
	v_mul_f32_e32 v0, v19, v11
	v_mul_f32_e32 v1, v18, v11
	v_fmac_f32_e32 v0, v18, v10
	v_fma_f32 v1, v19, v10, -v1
	v_add_u32_e32 v8, 0xa00, v87
	s_waitcnt vmcnt(12)
	v_mul_f32_e32 v6, v21, v23
	v_mul_f32_e32 v7, v20, v23
	v_fmac_f32_e32 v6, v20, v22
	v_fma_f32 v7, v21, v22, -v7
	ds_write2_b64 v8, v[0:1], v[6:7] offset0:40 offset1:220
	s_waitcnt vmcnt(11)
	v_mul_f32_e32 v0, v5, v25
	v_mul_f32_e32 v1, v4, v25
	v_fmac_f32_e32 v0, v4, v24
	v_fma_f32 v1, v5, v24, -v1
	s_waitcnt vmcnt(10)
	v_mul_f32_e32 v4, v13, v27
	v_mul_f32_e32 v5, v12, v27
	v_fmac_f32_e32 v4, v12, v26
	v_fma_f32 v5, v13, v26, -v5
	v_add_u32_e32 v6, 0x1600, v87
	ds_write2_b64 v6, v[0:1], v[4:5] offset0:16 offset1:196
	v_add_u32_e32 v4, 0x2000, v87
	s_waitcnt vmcnt(6)
	v_mul_f32_e32 v0, v3, v35
	v_mul_f32_e32 v1, v2, v35
	v_fmac_f32_e32 v0, v2, v34
	v_fma_f32 v1, v3, v34, -v1
	s_waitcnt vmcnt(5)
	v_mul_f32_e32 v2, v31, v37
	v_mul_f32_e32 v3, v30, v37
	v_fmac_f32_e32 v2, v30, v36
	v_fma_f32 v3, v31, v36, -v3
	ds_write2_b64 v4, v[0:1], v[2:3] offset0:56 offset1:236
	s_waitcnt vmcnt(4)
	v_mul_f32_e32 v0, v33, v39
	v_mul_f32_e32 v1, v32, v39
	v_fmac_f32_e32 v0, v32, v38
	v_fma_f32 v1, v33, v38, -v1
	v_add_u32_e32 v4, 0x2c00, v87
	s_waitcnt vmcnt(2)
	v_mul_f32_e32 v2, v29, v43
	v_mul_f32_e32 v3, v28, v43
	v_fmac_f32_e32 v2, v28, v42
	v_fma_f32 v3, v29, v42, -v3
	ds_write2_b64 v4, v[0:1], v[2:3] offset0:32 offset1:212
	s_waitcnt vmcnt(0)
	v_mul_f32_e32 v0, v45, v47
	v_mul_f32_e32 v1, v44, v47
	v_fmac_f32_e32 v0, v44, v46
	v_fma_f32 v1, v45, v46, -v1
	ds_write_b64 v87, v[0:1] offset:14400
.LBB0_3:
	s_or_b64 exec, exec, s[6:7]
	s_load_dwordx2 s[2:3], s[4:5], 0x20
	s_load_dwordx2 s[12:13], s[4:5], 0x8
	v_mov_b32_e32 v0, 0
	v_mov_b32_e32 v1, 0
	s_waitcnt lgkmcnt(0)
	s_barrier
	s_waitcnt lgkmcnt(0)
                                        ; implicit-def: $vgpr10
                                        ; implicit-def: $vgpr6
                                        ; implicit-def: $vgpr20
                                        ; implicit-def: $vgpr14
                                        ; implicit-def: $vgpr18
	s_and_saveexec_b64 s[4:5], s[0:1]
	s_cbranch_execz .LBB0_5
; %bb.4:
	v_add_u32_e32 v4, 0xa00, v87
	ds_read2_b64 v[16:19], v4 offset0:40 offset1:220
	v_add_u32_e32 v4, 0x1600, v87
	ds_read2_b64 v[12:15], v4 offset0:16 offset1:196
	v_add_u32_e32 v4, 0x2000, v87
	ds_read2_b64 v[8:11], v4 offset0:56 offset1:236
	v_add_u32_e32 v4, 0x2c00, v87
	ds_read2_b64 v[0:3], v87 offset1:180
	ds_read2_b64 v[4:7], v4 offset0:32 offset1:212
	ds_read_b64 v[20:21], v87 offset:14400
.LBB0_5:
	s_or_b64 exec, exec, s[4:5]
	s_waitcnt lgkmcnt(0)
	v_sub_f32_e32 v40, v3, v21
	v_mul_f32_e32 v34, 0xbf0a6770, v40
	v_add_f32_e32 v22, v20, v2
	v_sub_f32_e32 v45, v2, v20
	v_mov_b32_e32 v23, v34
	v_add_f32_e32 v24, v21, v3
	s_mov_b32 s6, 0x3f575c64
	v_mul_f32_e32 v36, 0xbf0a6770, v45
	v_fmac_f32_e32 v23, 0x3f575c64, v22
	v_sub_f32_e32 v43, v17, v7
	v_add_f32_e32 v25, v23, v0
	v_fma_f32 v23, v24, s6, -v36
	v_mul_f32_e32 v35, 0xbf68dda4, v43
	v_add_f32_e32 v27, v23, v1
	v_add_f32_e32 v23, v6, v16
	v_sub_f32_e32 v48, v16, v6
	v_mov_b32_e32 v28, v35
	v_add_f32_e32 v26, v7, v17
	s_mov_b32 s7, 0x3ed4b147
	v_mul_f32_e32 v38, 0xbf68dda4, v48
	v_fmac_f32_e32 v28, 0x3ed4b147, v23
	v_sub_f32_e32 v46, v19, v5
	v_add_f32_e32 v28, v28, v25
	v_fma_f32 v25, v26, s7, -v38
	v_mul_f32_e32 v37, 0xbf7d64f0, v46
	v_add_f32_e32 v27, v25, v27
	;; [unrolled: 12-line block ×4, first 2 shown]
	v_add_f32_e32 v31, v8, v14
	v_sub_f32_e32 v52, v14, v8
	v_mov_b32_e32 v54, v42
	v_add_f32_e32 v33, v9, v15
	s_mov_b32 s16, 0xbf75a155
	v_mul_f32_e32 v47, 0xbe903f40, v52
	v_fmac_f32_e32 v54, 0xbf75a155, v31
	v_add_f32_e32 v28, v54, v28
	v_fma_f32 v54, v33, s16, -v47
	v_add_f32_e32 v29, v54, v29
	v_mul_lo_u16_e32 v90, 11, v88
	s_barrier
	s_and_saveexec_b64 s[4:5], s[0:1]
	s_cbranch_execz .LBB0_7
; %bb.6:
	v_mul_f32_e32 v54, 0xbe11bafb, v24
	v_mov_b32_e32 v55, v54
	v_mul_f32_e32 v56, 0xbf75a155, v26
	v_add_f32_e32 v2, v2, v0
	v_fmac_f32_e32 v55, 0x3f7d64f0, v45
	v_mov_b32_e32 v57, v56
	v_add_f32_e32 v3, v3, v1
	v_add_f32_e32 v2, v16, v2
	v_mul_f32_e32 v16, 0x3ed4b147, v30
	v_add_f32_e32 v55, v55, v1
	v_fmac_f32_e32 v57, 0xbe903f40, v48
	v_add_f32_e32 v3, v17, v3
	v_mov_b32_e32 v17, v16
	v_add_f32_e32 v55, v57, v55
	v_add_f32_e32 v3, v19, v3
	;; [unrolled: 1-line block ×3, first 2 shown]
	v_fmac_f32_e32 v17, 0xbf68dda4, v50
	v_add_f32_e32 v17, v17, v55
	v_mul_f32_e32 v55, 0xbf7d64f0, v40
	v_add_f32_e32 v3, v13, v3
	v_add_f32_e32 v2, v12, v2
	;; [unrolled: 1-line block ×4, first 2 shown]
	v_mov_b32_e32 v3, v55
	v_mul_f32_e32 v14, 0x3e903f40, v43
	v_mul_f32_e32 v18, 0x3f575c64, v32
	v_fmac_f32_e32 v3, 0xbe11bafb, v22
	v_mov_b32_e32 v12, v14
	v_mov_b32_e32 v19, v18
	v_add_f32_e32 v3, v3, v0
	v_fmac_f32_e32 v12, 0xbf75a155, v23
	v_mul_f32_e32 v15, 0x3f68dda4, v46
	v_fmac_f32_e32 v19, 0x3f0a6770, v53
	v_add_f32_e32 v3, v12, v3
	v_mov_b32_e32 v12, v15
	v_add_f32_e32 v17, v19, v17
	v_mul_f32_e32 v19, 0xbf27a4f4, v33
	v_fmac_f32_e32 v12, 0x3ed4b147, v25
	v_add_f32_e32 v12, v12, v3
	v_mov_b32_e32 v3, v19
	v_fmac_f32_e32 v3, 0x3f4178ce, v52
	v_add_f32_e32 v3, v3, v17
	v_add_f32_e32 v2, v8, v2
	v_mul_f32_e32 v17, 0xbf0a6770, v49
	v_add_f32_e32 v58, v10, v2
	v_mov_b32_e32 v2, v17
	v_mul_f32_e32 v59, 0xbf4178ce, v51
	v_fmac_f32_e32 v2, 0x3f575c64, v27
	v_mov_b32_e32 v8, v59
	v_add_f32_e32 v9, v9, v13
	v_add_f32_e32 v2, v2, v12
	v_fmac_f32_e32 v8, 0xbf27a4f4, v31
	v_mul_f32_e32 v10, 0xbf75a155, v24
	v_add_f32_e32 v57, v11, v9
	v_add_f32_e32 v2, v8, v2
	v_mov_b32_e32 v8, v10
	v_mul_f32_e32 v11, 0x3f575c64, v26
	v_fmac_f32_e32 v8, 0x3e903f40, v45
	v_mov_b32_e32 v9, v11
	v_add_f32_e32 v8, v8, v1
	v_fmac_f32_e32 v9, 0xbf0a6770, v48
	v_mul_f32_e32 v12, 0xbf27a4f4, v30
	v_add_f32_e32 v8, v9, v8
	v_mov_b32_e32 v9, v12
	v_fmac_f32_e32 v9, 0x3f4178ce, v50
	v_mul_f32_e32 v13, 0x3ed4b147, v32
	v_add_f32_e32 v8, v9, v8
	v_mov_b32_e32 v9, v13
	;; [unrolled: 4-line block ×3, first 2 shown]
	v_mul_f32_e32 v62, 0x3f0a6770, v43
	v_fmac_f32_e32 v9, 0xbf75a155, v22
	v_mov_b32_e32 v63, v62
	v_add_f32_e32 v9, v9, v0
	v_fmac_f32_e32 v63, 0x3f575c64, v23
	v_add_f32_e32 v9, v63, v9
	v_mul_f32_e32 v63, 0xbf4178ce, v46
	v_mov_b32_e32 v64, v63
	v_fmac_f32_e32 v10, 0xbe903f40, v45
	v_fmac_f32_e32 v54, 0xbf7d64f0, v45
	;; [unrolled: 1-line block ×3, first 2 shown]
	v_add_f32_e32 v10, v10, v1
	v_fmac_f32_e32 v11, 0x3f0a6770, v48
	v_add_f32_e32 v54, v54, v1
	v_fmac_f32_e32 v56, 0x3e903f40, v48
	v_add_f32_e32 v9, v64, v9
	v_mul_f32_e32 v64, 0x3f68dda4, v49
	v_add_f32_e32 v10, v11, v10
	v_fmac_f32_e32 v12, 0xbf4178ce, v50
	v_fma_f32 v11, v22, s16, -v61
	v_add_f32_e32 v54, v56, v54
	v_fmac_f32_e32 v16, 0x3f68dda4, v50
	v_mov_b32_e32 v65, v64
	v_add_f32_e32 v10, v12, v10
	v_add_f32_e32 v11, v11, v0
	v_fma_f32 v12, v23, s6, -v62
	v_add_f32_e32 v16, v16, v54
	v_fmac_f32_e32 v18, 0xbf0a6770, v53
	v_fmac_f32_e32 v65, 0x3ed4b147, v27
	v_mul_f32_e32 v66, 0xbe11bafb, v33
	v_fmac_f32_e32 v13, 0x3f68dda4, v53
	v_add_f32_e32 v11, v12, v11
	v_fma_f32 v12, v25, s15, -v63
	v_add_f32_e32 v16, v18, v16
	v_fma_f32 v18, v22, s14, -v55
	v_add_f32_e32 v65, v65, v9
	v_mov_b32_e32 v9, v66
	v_mul_f32_e32 v67, 0xbf7d64f0, v51
	v_add_f32_e32 v10, v13, v10
	v_add_f32_e32 v11, v12, v11
	v_fma_f32 v12, v27, s7, -v64
	v_fmac_f32_e32 v66, 0xbf7d64f0, v52
	v_add_f32_e32 v18, v18, v0
	v_fma_f32 v14, v23, s16, -v14
	v_add_f32_e32 v12, v12, v11
	v_add_f32_e32 v11, v66, v10
	v_fma_f32 v10, v31, s14, -v67
	v_mul_f32_e32 v61, 0xbf4178ce, v45
	v_add_f32_e32 v14, v14, v18
	v_fma_f32 v15, v25, s7, -v15
	v_add_f32_e32 v10, v10, v12
	v_mov_b32_e32 v12, v61
	v_mul_f32_e32 v62, 0x3f7d64f0, v48
	v_add_f32_e32 v14, v15, v14
	v_fma_f32 v15, v27, s6, -v17
	v_fmac_f32_e32 v19, 0xbf4178ce, v52
	v_fmac_f32_e32 v12, 0xbf27a4f4, v24
	v_mov_b32_e32 v13, v62
	v_add_f32_e32 v14, v15, v14
	v_add_f32_e32 v15, v19, v16
	v_fma_f32 v16, v31, s15, -v59
	v_mul_f32_e32 v45, 0xbf68dda4, v45
	v_add_f32_e32 v12, v12, v1
	v_fmac_f32_e32 v13, 0xbe11bafb, v26
	v_mul_f32_e32 v63, 0xbf0a6770, v50
	v_add_f32_e32 v14, v16, v14
	v_mov_b32_e32 v16, v45
	v_mul_f32_e32 v48, 0xbf4178ce, v48
	v_fmac_f32_e32 v9, 0x3f7d64f0, v52
	v_add_f32_e32 v12, v13, v12
	v_mov_b32_e32 v13, v63
	v_fmac_f32_e32 v16, 0x3ed4b147, v24
	v_mov_b32_e32 v17, v48
	v_add_f32_e32 v9, v9, v8
	v_mov_b32_e32 v8, v67
	v_fmac_f32_e32 v13, 0x3f575c64, v30
	v_mul_f32_e32 v64, 0xbe903f40, v53
	v_add_f32_e32 v16, v16, v1
	v_fmac_f32_e32 v17, 0xbf27a4f4, v26
	v_mul_f32_e32 v50, 0x3e903f40, v50
	v_fmac_f32_e32 v8, 0xbe11bafb, v31
	v_add_f32_e32 v12, v13, v12
	v_mov_b32_e32 v13, v64
	v_add_f32_e32 v16, v17, v16
	v_mov_b32_e32 v17, v50
	v_add_f32_e32 v8, v8, v65
	v_fmac_f32_e32 v13, 0xbf75a155, v32
	v_mul_f32_e32 v65, 0xbf4178ce, v40
	v_fmac_f32_e32 v17, 0xbf75a155, v30
	v_mul_f32_e32 v53, 0x3f7d64f0, v53
	v_add_f32_e32 v12, v13, v12
	v_fma_f32 v13, v22, s15, -v65
	v_mul_f32_e32 v66, 0x3f7d64f0, v43
	v_add_f32_e32 v16, v17, v16
	v_mov_b32_e32 v17, v53
	v_add_f32_e32 v13, v13, v0
	v_fma_f32 v67, v23, s14, -v66
	v_fmac_f32_e32 v17, 0xbe11bafb, v32
	v_mul_f32_e32 v40, 0xbf68dda4, v40
	v_add_f32_e32 v13, v67, v13
	v_mul_f32_e32 v67, 0xbf0a6770, v46
	v_add_f32_e32 v16, v17, v16
	v_fma_f32 v17, v22, s7, -v40
	v_mul_f32_e32 v43, 0xbf4178ce, v43
	v_fma_f32 v68, v25, s6, -v67
	v_add_f32_e32 v17, v17, v0
	v_fma_f32 v18, v23, s15, -v43
	v_mul_f32_e32 v46, 0x3e903f40, v46
	v_add_f32_e32 v13, v68, v13
	v_mul_f32_e32 v68, 0xbe903f40, v49
	v_add_f32_e32 v17, v18, v17
	v_fma_f32 v18, v25, s16, -v46
	v_mul_f32_e32 v49, 0x3f7d64f0, v49
	v_mul_f32_e32 v70, 0x3f68dda4, v52
	v_add_f32_e32 v17, v18, v17
	v_fma_f32 v18, v27, s14, -v49
	v_mul_f32_e32 v52, 0x3f0a6770, v52
	v_add_f32_e32 v18, v18, v17
	v_mov_b32_e32 v17, v52
	v_mul_f32_e32 v71, 0x3f68dda4, v51
	v_fmac_f32_e32 v17, 0x3f575c64, v33
	v_mul_f32_e32 v51, 0x3f0a6770, v51
	v_add_f32_e32 v17, v17, v16
	v_fma_f32 v16, v31, s6, -v51
	v_add_f32_e32 v16, v16, v18
	v_mul_f32_e32 v18, 0x3f575c64, v24
	v_add_f32_e32 v18, v36, v18
	v_mul_f32_e32 v36, 0x3f575c64, v22
	;; [unrolled: 2-line block ×3, first 2 shown]
	v_sub_f32_e32 v34, v36, v34
	v_mul_f32_e32 v36, 0x3ed4b147, v23
	v_add_f32_e32 v5, v5, v57
	v_add_f32_e32 v4, v6, v4
	v_fma_f32 v6, v24, s15, -v61
	v_add_f32_e32 v19, v38, v19
	v_add_f32_e32 v18, v18, v1
	v_sub_f32_e32 v35, v36, v35
	v_add_f32_e32 v34, v34, v0
	v_add_f32_e32 v5, v7, v5
	v_add_f32_e32 v6, v6, v1
	v_fma_f32 v7, v26, s14, -v62
	v_add_f32_e32 v18, v19, v18
	v_mul_f32_e32 v19, 0xbe11bafb, v30
	v_add_f32_e32 v34, v35, v34
	v_mul_f32_e32 v35, 0xbe11bafb, v25
	v_add_f32_e32 v6, v7, v6
	v_fma_f32 v7, v30, s6, -v63
	v_add_f32_e32 v19, v41, v19
	v_sub_f32_e32 v35, v35, v37
	v_add_f32_e32 v4, v20, v4
	v_add_f32_e32 v6, v7, v6
	v_fma_f32 v7, v32, s16, -v64
	v_fma_f32 v20, v24, s7, -v45
	v_add_f32_e32 v18, v19, v18
	v_mul_f32_e32 v19, 0xbf27a4f4, v32
	v_add_f32_e32 v34, v35, v34
	v_mul_f32_e32 v35, 0xbf27a4f4, v27
	v_add_f32_e32 v6, v7, v6
	v_fma_f32 v7, v33, s7, -v70
	v_fmac_f32_e32 v65, 0xbf27a4f4, v22
	v_add_f32_e32 v1, v20, v1
	v_fma_f32 v20, v26, s15, -v48
	v_fmac_f32_e32 v40, 0x3ed4b147, v22
	v_fma_f32 v69, v27, s16, -v68
	v_add_f32_e32 v19, v44, v19
	v_sub_f32_e32 v35, v35, v39
	v_add_f32_e32 v7, v7, v6
	v_add_f32_e32 v6, v65, v0
	v_fmac_f32_e32 v66, 0xbe11bafb, v23
	v_add_f32_e32 v1, v20, v1
	v_fma_f32 v20, v30, s16, -v50
	v_add_f32_e32 v0, v40, v0
	v_fmac_f32_e32 v43, 0xbf27a4f4, v23
	v_add_f32_e32 v69, v69, v13
	v_mov_b32_e32 v13, v70
	v_add_f32_e32 v18, v19, v18
	v_mul_f32_e32 v19, 0xbf75a155, v33
	v_add_f32_e32 v34, v35, v34
	v_mul_f32_e32 v35, 0xbf75a155, v31
	v_add_f32_e32 v6, v66, v6
	v_fmac_f32_e32 v67, 0x3f575c64, v25
	v_add_f32_e32 v1, v20, v1
	v_fma_f32 v20, v32, s14, -v53
	v_add_f32_e32 v0, v43, v0
	v_fmac_f32_e32 v46, 0xbf75a155, v25
	v_fmac_f32_e32 v13, 0x3ed4b147, v33
	v_add_f32_e32 v19, v47, v19
	v_sub_f32_e32 v35, v35, v42
	v_add_f32_e32 v6, v67, v6
	v_fmac_f32_e32 v68, 0xbf75a155, v27
	v_add_f32_e32 v1, v20, v1
	v_fma_f32 v20, v33, s6, -v52
	v_add_f32_e32 v0, v46, v0
	v_fmac_f32_e32 v49, 0xbe11bafb, v27
	v_add_f32_e32 v13, v13, v12
	v_fma_f32 v12, v31, s7, -v71
	v_add_f32_e32 v19, v19, v18
	v_add_f32_e32 v18, v35, v34
	;; [unrolled: 1-line block ×4, first 2 shown]
	v_fmac_f32_e32 v71, 0x3ed4b147, v31
	v_add_f32_e32 v1, v20, v1
	v_add_f32_e32 v0, v49, v0
	v_fmac_f32_e32 v51, 0x3f575c64, v31
	v_lshlrev_b32_e32 v20, 3, v90
	v_add_f32_e32 v12, v12, v69
	v_add_f32_e32 v6, v71, v6
	v_add_f32_e32 v0, v51, v0
	ds_write2_b64 v20, v[4:5], v[18:19] offset1:1
	ds_write2_b64 v20, v[16:17], v[14:15] offset0:2 offset1:3
	ds_write2_b64 v20, v[12:13], v[10:11] offset0:4 offset1:5
	;; [unrolled: 1-line block ×4, first 2 shown]
	ds_write_b64 v20, v[28:29] offset:80
.LBB0_7:
	s_or_b64 exec, exec, s[4:5]
	s_load_dwordx4 s[4:7], s[2:3], 0x0
	s_movk_i32 s2, 0x18c
	v_add_co_u32_e32 v56, vcc, s2, v88
	s_movk_i32 s2, 0x318
	v_add_co_u32_e32 v1, vcc, s2, v88
	s_movk_i32 s2, 0x75
	v_mul_lo_u16_sdwa v0, v88, s2 dst_sel:DWORD dst_unused:UNUSED_PAD src0_sel:BYTE_0 src1_sel:DWORD
	v_sub_u16_sdwa v2, v88, v0 dst_sel:DWORD dst_unused:UNUSED_PAD src0_sel:DWORD src1_sel:BYTE_1
	v_lshrrev_b16_e32 v2, 1, v2
	v_and_b32_e32 v2, 0x7f, v2
	v_add_u16_sdwa v0, v2, v0 dst_sel:DWORD dst_unused:UNUSED_PAD src0_sel:DWORD src1_sel:BYTE_1
	v_add_co_u32_e32 v57, vcc, 0xc6, v88
	v_lshrrev_b16_e32 v3, 3, v0
	s_mov_b32 s2, 0xba2f
	v_mul_lo_u16_e32 v0, 11, v3
	v_mul_u32_u24_sdwa v12, v57, s2 dst_sel:DWORD dst_unused:UNUSED_PAD src0_sel:WORD_0 src1_sel:DWORD
	v_sub_u16_e32 v0, v88, v0
	v_lshrrev_b32_e32 v25, 19, v12
	v_and_b32_e32 v11, 0xff, v0
	v_mul_lo_u16_e32 v0, 11, v25
	v_sub_u16_e32 v26, v57, v0
	v_mul_u32_u24_sdwa v0, v56, s2 dst_sel:DWORD dst_unused:UNUSED_PAD src0_sel:WORD_0 src1_sel:DWORD
	v_lshrrev_b32_e32 v27, 19, v0
	v_mul_lo_u16_e32 v4, 11, v27
	v_sub_u16_e32 v34, v56, v4
	v_mul_u32_u24_sdwa v4, v1, s2 dst_sel:DWORD dst_unused:UNUSED_PAD src0_sel:WORD_0 src1_sel:DWORD
	v_lshrrev_b32_e32 v35, 19, v4
	v_mul_lo_u16_e32 v4, 11, v35
	v_sub_u16_e32 v36, v1, v4
	v_lshlrev_b32_e32 v1, 3, v36
	s_waitcnt lgkmcnt(0)
	s_barrier
	v_lshlrev_b32_e32 v2, 3, v11
	global_load_dwordx2 v[61:62], v1, s[12:13]
	global_load_dwordx2 v[69:70], v2, s[12:13]
	v_add_u16_e32 v58, 0x252, v88
	v_mul_u32_u24_e32 v4, 0xba2f, v58
	v_lshlrev_b32_e32 v6, 3, v34
	global_load_dwordx2 v[65:66], v6, s[12:13]
	v_lshrrev_b32_e32 v37, 19, v4
	v_mul_lo_u16_e32 v1, 11, v37
	v_sub_u16_e32 v38, v58, v1
	v_lshlrev_b32_e32 v5, 3, v26
	v_lshlrev_b32_e32 v1, 3, v38
	global_load_dwordx2 v[67:68], v5, s[12:13]
	global_load_dwordx2 v[63:64], v1, s[12:13]
	v_mov_b32_e32 v1, 3
	v_lshlrev_b32_sdwa v89, v1, v88 dst_sel:DWORD dst_unused:UNUSED_PAD src0_sel:DWORD src1_sel:WORD_0
	v_add_u32_e32 v9, 0x3000, v89
	ds_read2_b64 v[13:16], v9 offset0:48 offset1:246
	v_add_u32_e32 v1, 0x1800, v89
	ds_read2_b64 v[5:8], v89 offset1:198
	v_add_u32_e32 v2, 0x2400, v89
	v_add_u32_e32 v9, 0xc00, v89
	ds_read2_b64 v[17:20], v1 offset0:24 offset1:222
	ds_read2_b64 v[21:24], v2 offset0:36 offset1:234
	;; [unrolled: 1-line block ×3, first 2 shown]
	v_mul_u32_u24_e32 v3, 22, v3
	v_add_lshl_u32 v93, v3, v11, 3
	s_waitcnt vmcnt(0) lgkmcnt(0)
	s_barrier
	s_movk_i32 s16, 0x42
	v_cmp_gt_u16_e64 s[2:3], s16, v88
	v_mul_f32_e32 v1, v16, v62
	v_fma_f32 v40, v15, v61, -v1
	v_mul_f32_e32 v1, v20, v70
	v_mul_f32_e32 v2, v19, v70
	v_fma_f32 v1, v19, v69, -v1
	v_fmac_f32_e32 v2, v20, v69
	v_sub_f32_e32 v1, v5, v1
	v_sub_f32_e32 v2, v6, v2
	v_fma_f32 v5, v5, 2.0, -v1
	v_fma_f32 v6, v6, 2.0, -v2
	v_mul_f32_e32 v39, v15, v62
	ds_write2_b64 v93, v[5:6], v[1:2] offset1:11
	v_mad_legacy_u16 v1, v25, 22, v26
	v_fmac_f32_e32 v39, v16, v61
	v_mul_f32_e32 v9, v22, v68
	v_mul_f32_e32 v10, v21, v68
	;; [unrolled: 1-line block ×6, first 2 shown]
	v_lshlrev_b32_e32 v94, 3, v1
	v_mad_legacy_u16 v1, v27, 22, v34
	v_fma_f32 v9, v21, v67, -v9
	v_fmac_f32_e32 v10, v22, v67
	v_fma_f32 v15, v23, v65, -v15
	v_fmac_f32_e32 v16, v24, v65
	;; [unrolled: 2-line block ×3, first 2 shown]
	v_lshlrev_b32_e32 v95, 3, v1
	v_mad_legacy_u16 v1, v37, 22, v38
	v_sub_f32_e32 v9, v7, v9
	v_sub_f32_e32 v10, v8, v10
	;; [unrolled: 1-line block ×8, first 2 shown]
	v_lshlrev_b32_e32 v96, 3, v1
	v_mad_legacy_u16 v1, v35, 22, v36
	v_fma_f32 v7, v7, 2.0, -v9
	v_fma_f32 v8, v8, 2.0, -v10
	;; [unrolled: 1-line block ×8, first 2 shown]
	v_lshlrev_b32_e32 v97, 3, v1
	v_add_u32_e32 v1, 0x1400, v89
	ds_write2_b64 v94, v[7:8], v[9:10] offset1:11
	ds_write2_b64 v95, v[19:20], v[13:14] offset1:11
	;; [unrolled: 1-line block ×4, first 2 shown]
	s_waitcnt lgkmcnt(0)
	s_barrier
	ds_read2_b64 v[20:23], v1 offset0:20 offset1:218
	v_add_u32_e32 v1, 0x2800, v89
	ds_read2_b64 v[8:11], v89 offset1:198
	ds_read2_b64 v[24:27], v1 offset0:40 offset1:238
	ds_read_b64 v[30:31], v89 offset:3168
	ds_read_b64 v[34:35], v89 offset:8448
	;; [unrolled: 1-line block ×3, first 2 shown]
                                        ; implicit-def: $vgpr36
	s_and_saveexec_b64 s[14:15], s[2:3]
	s_cbranch_execz .LBB0_9
; %bb.8:
	ds_read_b64 v[44:45], v89 offset:4752
	ds_read_b64 v[28:29], v89 offset:10032
	ds_read_b64 v[36:37], v89 offset:15312
.LBB0_9:
	s_or_b64 exec, exec, s[14:15]
	v_lshrrev_b32_e32 v38, 20, v0
	v_lshrrev_b16_e32 v1, 1, v88
	v_mul_lo_u16_e32 v0, 22, v38
	v_and_b32_e32 v13, 0x7f, v1
	v_sub_u16_e32 v39, v56, v0
	v_lshrrev_b32_e32 v91, 20, v4
	v_lshlrev_b16_e32 v0, 4, v39
	v_mul_lo_u16_e32 v4, 22, v91
	v_mul_lo_u16_e32 v13, 0xbb, v13
	v_mov_b32_e32 v14, s13
	v_add_co_u32_e32 v0, vcc, s12, v0
	v_sub_u16_e32 v92, v58, v4
	v_lshrrev_b16_e32 v40, 11, v13
	v_lshrrev_b32_e32 v42, 20, v12
	v_addc_co_u32_e32 v1, vcc, 0, v14, vcc
	v_lshlrev_b16_e32 v4, 4, v92
	v_mul_lo_u16_e32 v13, 22, v40
	v_mul_lo_u16_e32 v12, 22, v42
	v_add_co_u32_e32 v4, vcc, s12, v4
	v_sub_u16_e32 v13, v88, v13
	v_sub_u16_e32 v43, v57, v12
	v_addc_co_u32_e32 v5, vcc, 0, v14, vcc
	v_and_b32_e32 v41, 0xff, v13
	v_lshlrev_b16_e32 v12, 4, v43
	global_load_dwordx4 v[0:3], v[0:1], off offset:88
	v_lshlrev_b32_e32 v13, 4, v41
	global_load_dwordx4 v[16:19], v13, s[12:13] offset:88
	v_add_co_u32_e32 v12, vcc, s12, v12
	global_load_dwordx4 v[4:7], v[4:5], off offset:88
	v_addc_co_u32_e32 v13, vcc, 0, v14, vcc
	global_load_dwordx4 v[12:15], v[12:13], off offset:88
	s_waitcnt vmcnt(0) lgkmcnt(0)
	s_barrier
	v_mul_f32_e32 v47, v34, v1
	v_mul_f32_e32 v48, v33, v3
	;; [unrolled: 1-line block ×4, first 2 shown]
	v_fmac_f32_e32 v47, v35, v0
	v_mul_f32_e32 v50, v29, v5
	v_mul_f32_e32 v51, v28, v5
	v_fma_f32 v35, v32, v2, -v48
	v_fma_f32 v48, v28, v4, -v50
	v_fmac_f32_e32 v51, v29, v4
	v_mul_f32_e32 v28, v21, v17
	v_mul_f32_e32 v29, v20, v17
	;; [unrolled: 1-line block ×4, first 2 shown]
	v_fma_f32 v34, v34, v0, -v46
	v_mul_f32_e32 v46, v22, v13
	v_fma_f32 v20, v20, v16, -v28
	v_fmac_f32_e32 v29, v21, v16
	v_fma_f32 v21, v24, v18, -v32
	v_mul_f32_e32 v52, v37, v7
	v_fmac_f32_e32 v49, v33, v2
	v_fmac_f32_e32 v53, v37, v6
	v_mul_f32_e32 v33, v24, v19
	v_mul_f32_e32 v37, v23, v13
	v_fmac_f32_e32 v46, v23, v12
	v_add_f32_e32 v23, v20, v21
	v_fma_f32 v36, v36, v6, -v52
	v_mul_f32_e32 v52, v26, v15
	v_fmac_f32_e32 v33, v25, v18
	v_fma_f32 v28, v22, v12, -v37
	v_add_f32_e32 v22, v8, v20
	v_add_f32_e32 v24, v9, v29
	v_fma_f32 v8, -0.5, v23, v8
	v_mul_f32_e32 v50, v27, v15
	v_fmac_f32_e32 v52, v27, v14
	v_sub_f32_e32 v27, v29, v33
	v_add_f32_e32 v25, v29, v33
	v_sub_f32_e32 v29, v20, v21
	v_add_f32_e32 v20, v22, v21
	v_add_f32_e32 v21, v24, v33
	v_mov_b32_e32 v24, v8
	v_fma_f32 v9, -0.5, v25, v9
	v_fmac_f32_e32 v8, 0xbf5db3d7, v27
	v_fmac_f32_e32 v24, 0x3f5db3d7, v27
	v_add_f32_e32 v27, v46, v52
	v_fma_f32 v32, v26, v14, -v50
	v_add_f32_e32 v54, v11, v46
	v_mov_b32_e32 v25, v9
	v_fmac_f32_e32 v11, -0.5, v27
	v_add_f32_e32 v26, v10, v28
	v_add_f32_e32 v37, v28, v32
	v_fmac_f32_e32 v9, 0x3f5db3d7, v29
	v_fmac_f32_e32 v25, 0xbf5db3d7, v29
	v_sub_f32_e32 v28, v28, v32
	v_mov_b32_e32 v27, v11
	v_add_f32_e32 v29, v34, v35
	v_fmac_f32_e32 v27, 0xbf5db3d7, v28
	v_fmac_f32_e32 v11, 0x3f5db3d7, v28
	v_add_f32_e32 v28, v30, v34
	v_fma_f32 v30, -0.5, v29, v30
	v_add_f32_e32 v22, v26, v32
	v_sub_f32_e32 v29, v47, v49
	v_mov_b32_e32 v32, v30
	v_add_f32_e32 v33, v47, v49
	v_fmac_f32_e32 v32, 0x3f5db3d7, v29
	v_fmac_f32_e32 v30, 0xbf5db3d7, v29
	v_add_f32_e32 v29, v31, v47
	v_fmac_f32_e32 v31, -0.5, v33
	v_sub_f32_e32 v34, v34, v35
	v_mov_b32_e32 v33, v31
	v_fmac_f32_e32 v33, 0xbf5db3d7, v34
	v_fmac_f32_e32 v31, 0x3f5db3d7, v34
	v_add_f32_e32 v34, v44, v48
	v_sub_f32_e32 v50, v46, v52
	v_fma_f32 v10, -0.5, v37, v10
	v_add_f32_e32 v46, v34, v36
	v_add_f32_e32 v34, v48, v36
	v_mov_b32_e32 v26, v10
	v_fmac_f32_e32 v44, -0.5, v34
	v_fmac_f32_e32 v10, 0xbf5db3d7, v50
	v_fmac_f32_e32 v26, 0x3f5db3d7, v50
	v_sub_f32_e32 v34, v51, v53
	v_mov_b32_e32 v50, v44
	v_fmac_f32_e32 v50, 0x3f5db3d7, v34
	v_fmac_f32_e32 v44, 0xbf5db3d7, v34
	v_add_f32_e32 v34, v45, v51
	v_add_f32_e32 v47, v34, v53
	;; [unrolled: 1-line block ×3, first 2 shown]
	v_fmac_f32_e32 v45, -0.5, v34
	v_sub_f32_e32 v34, v48, v36
	v_mov_b32_e32 v51, v45
	v_fmac_f32_e32 v51, 0xbf5db3d7, v34
	v_fmac_f32_e32 v45, 0x3f5db3d7, v34
	v_mul_u32_u24_e32 v34, 0x42, v40
	v_add_lshl_u32 v98, v34, v41, 3
	ds_write2_b64 v98, v[20:21], v[24:25] offset1:22
	ds_write_b64 v98, v[8:9] offset:352
	v_mad_legacy_u16 v8, v42, s16, v43
	v_lshlrev_b32_e32 v99, 3, v8
	v_mad_legacy_u16 v8, v38, s16, v39
	v_add_f32_e32 v23, v54, v52
	v_add_f32_e32 v28, v28, v35
	;; [unrolled: 1-line block ×3, first 2 shown]
	v_lshlrev_b32_e32 v100, 3, v8
	ds_write2_b64 v99, v[22:23], v[26:27] offset1:22
	ds_write_b64 v99, v[10:11] offset:352
	ds_write2_b64 v100, v[28:29], v[32:33] offset1:22
	ds_write_b64 v100, v[30:31] offset:352
	s_and_saveexec_b64 s[14:15], s[2:3]
	s_cbranch_execz .LBB0_11
; %bb.10:
	v_mul_u32_u24_e32 v8, 0xba2f, v58
	v_lshrrev_b32_e32 v8, 20, v8
	v_mad_legacy_u16 v8, v8, s16, v92
	v_lshlrev_b32_e32 v8, 3, v8
	ds_write2_b64 v8, v[46:47], v[50:51] offset1:22
	ds_write_b64 v8, v[44:45] offset:352
.LBB0_11:
	s_or_b64 exec, exec, s[14:15]
	v_add_u32_e32 v8, 0x1400, v89
	s_waitcnt lgkmcnt(0)
	s_barrier
	ds_read2_b64 v[36:39], v8 offset0:20 offset1:218
	v_add_u32_e32 v8, 0x2800, v89
	ds_read2_b64 v[32:35], v89 offset1:198
	ds_read2_b64 v[40:43], v8 offset0:40 offset1:238
	ds_read_b64 v[48:49], v89 offset:3168
	ds_read_b64 v[54:55], v89 offset:8448
	;; [unrolled: 1-line block ×3, first 2 shown]
	s_and_saveexec_b64 s[14:15], s[2:3]
	s_cbranch_execz .LBB0_13
; %bb.12:
	ds_read_b64 v[46:47], v89 offset:4752
	ds_read_b64 v[50:51], v89 offset:10032
	;; [unrolled: 1-line block ×3, first 2 shown]
.LBB0_13:
	s_or_b64 exec, exec, s[14:15]
	s_movk_i32 s14, 0xf9
	v_mul_lo_u16_sdwa v8, v88, s14 dst_sel:DWORD dst_unused:UNUSED_PAD src0_sel:BYTE_0 src1_sel:DWORD
	v_lshrrev_b16_e32 v59, 14, v8
	v_mul_lo_u16_e32 v8, 0x42, v59
	v_sub_u16_e32 v8, v88, v8
	s_mov_b32 s14, 0xf83f
	v_and_b32_e32 v71, 0xff, v8
	v_mul_u32_u24_sdwa v8, v57, s14 dst_sel:DWORD dst_unused:UNUSED_PAD src0_sel:WORD_0 src1_sel:DWORD
	v_lshrrev_b32_e32 v72, 22, v8
	v_mul_lo_u16_e32 v8, 0x42, v72
	v_sub_u16_e32 v73, v57, v8
	v_lshlrev_b16_e32 v8, 4, v73
	v_lshlrev_b32_e32 v10, 4, v71
	v_mov_b32_e32 v11, s13
	v_add_co_u32_e32 v8, vcc, s12, v8
	v_addc_co_u32_e32 v9, vcc, 0, v11, vcc
	global_load_dwordx4 v[24:27], v10, s[12:13] offset:440
	global_load_dwordx4 v[20:23], v[8:9], off offset:440
	v_mul_u32_u24_sdwa v8, v56, s14 dst_sel:DWORD dst_unused:UNUSED_PAD src0_sel:WORD_0 src1_sel:DWORD
	v_lshrrev_b32_e32 v74, 22, v8
	v_mul_lo_u16_e32 v8, 0x42, v74
	v_sub_u16_e32 v75, v56, v8
	v_lshlrev_b16_e32 v8, 4, v75
	v_add_co_u32_e32 v8, vcc, s12, v8
	v_addc_co_u32_e32 v9, vcc, 0, v11, vcc
	global_load_dwordx4 v[28:31], v[8:9], off offset:440
	v_mul_u32_u24_e32 v8, 0xf83f, v58
	v_lshrrev_b32_e32 v8, 22, v8
	v_mul_lo_u16_e32 v8, 0x42, v8
	v_sub_u16_e32 v58, v58, v8
	v_lshlrev_b16_e32 v8, 4, v58
	v_add_co_u32_e32 v8, vcc, s12, v8
	v_addc_co_u32_e32 v9, vcc, 0, v11, vcc
	global_load_dwordx4 v[8:11], v[8:9], off offset:440
	s_movk_i32 s14, 0xc6
	s_waitcnt vmcnt(0) lgkmcnt(0)
	s_barrier
	v_mul_f32_e32 v76, v37, v25
	v_mul_f32_e32 v77, v36, v25
	;; [unrolled: 1-line block ×8, first 2 shown]
	v_fma_f32 v76, v36, v24, -v76
	v_fmac_f32_e32 v77, v37, v24
	v_fma_f32 v40, v40, v26, -v78
	v_fmac_f32_e32 v79, v41, v26
	;; [unrolled: 2-line block ×4, first 2 shown]
	v_add_f32_e32 v39, v76, v40
	v_add_f32_e32 v43, v77, v79
	;; [unrolled: 1-line block ×4, first 2 shown]
	v_fma_f32 v32, -0.5, v39, v32
	v_mul_f32_e32 v102, v51, v9
	v_mul_f32_e32 v57, v44, v11
	;; [unrolled: 1-line block ×4, first 2 shown]
	v_fma_f32 v36, v50, v8, -v102
	v_fmac_f32_e32 v57, v45, v10
	v_add_f32_e32 v45, v34, v78
	v_add_f32_e32 v50, v78, v80
	v_fma_f32 v33, -0.5, v43, v33
	v_mul_f32_e32 v84, v55, v29
	v_mul_f32_e32 v85, v54, v29
	;; [unrolled: 1-line block ×3, first 2 shown]
	v_fma_f32 v37, v44, v10, -v103
	v_sub_f32_e32 v41, v77, v79
	v_sub_f32_e32 v44, v76, v40
	v_add_f32_e32 v38, v38, v40
	v_add_f32_e32 v39, v42, v79
	;; [unrolled: 1-line block ×3, first 2 shown]
	v_fma_f32 v34, -0.5, v50, v34
	v_mov_b32_e32 v42, v32
	v_mov_b32_e32 v43, v33
	v_add_f32_e32 v45, v81, v83
	v_fma_f32 v54, v54, v28, -v84
	v_fmac_f32_e32 v85, v55, v28
	v_fma_f32 v55, v52, v30, -v86
	v_fmac_f32_e32 v56, v51, v8
	v_sub_f32_e32 v51, v81, v83
	v_fmac_f32_e32 v32, 0xbf5db3d7, v41
	v_fmac_f32_e32 v33, 0x3f5db3d7, v44
	;; [unrolled: 1-line block ×4, first 2 shown]
	v_mov_b32_e32 v44, v34
	v_add_f32_e32 v41, v35, v81
	v_fmac_f32_e32 v35, -0.5, v45
	v_mul_f32_e32 v101, v52, v31
	v_fmac_f32_e32 v44, 0x3f5db3d7, v51
	v_fmac_f32_e32 v34, 0xbf5db3d7, v51
	v_sub_f32_e32 v50, v78, v80
	v_mov_b32_e32 v45, v35
	v_add_f32_e32 v51, v54, v55
	v_fmac_f32_e32 v101, v53, v30
	v_fmac_f32_e32 v45, 0xbf5db3d7, v50
	v_fmac_f32_e32 v35, 0x3f5db3d7, v50
	v_add_f32_e32 v50, v48, v54
	v_fma_f32 v48, -0.5, v51, v48
	v_sub_f32_e32 v51, v85, v101
	v_mov_b32_e32 v52, v48
	v_add_f32_e32 v53, v85, v101
	v_fmac_f32_e32 v52, 0x3f5db3d7, v51
	v_fmac_f32_e32 v48, 0xbf5db3d7, v51
	v_add_f32_e32 v51, v49, v85
	v_fmac_f32_e32 v49, -0.5, v53
	v_sub_f32_e32 v54, v54, v55
	v_mov_b32_e32 v53, v49
	v_fmac_f32_e32 v53, 0xbf5db3d7, v54
	v_fmac_f32_e32 v49, 0x3f5db3d7, v54
	v_add_f32_e32 v54, v36, v37
	v_fma_f32 v81, -0.5, v54, v46
	v_add_f32_e32 v41, v41, v83
	v_sub_f32_e32 v54, v56, v57
	v_mov_b32_e32 v83, v81
	v_fmac_f32_e32 v83, 0x3f5db3d7, v54
	v_fmac_f32_e32 v81, 0xbf5db3d7, v54
	v_add_f32_e32 v54, v56, v57
	v_fma_f32 v82, -0.5, v54, v47
	v_sub_f32_e32 v54, v36, v37
	v_mov_b32_e32 v84, v82
	v_fmac_f32_e32 v84, 0xbf5db3d7, v54
	v_fmac_f32_e32 v82, 0x3f5db3d7, v54
	v_mul_u32_u24_e32 v54, 0xc6, v59
	v_add_lshl_u32 v102, v54, v71, 3
	ds_write2_b64 v102, v[38:39], v[42:43] offset1:66
	ds_write_b64 v102, v[32:33] offset:1056
	v_mad_legacy_u16 v32, v72, s14, v73
	v_lshlrev_b32_e32 v103, 3, v32
	v_mad_legacy_u16 v32, v74, s14, v75
	v_add_f32_e32 v50, v50, v55
	v_add_f32_e32 v51, v51, v101
	v_lshlrev_b32_e32 v104, 3, v32
	v_lshlrev_b32_e32 v101, 3, v58
	ds_write2_b64 v103, v[40:41], v[44:45] offset1:66
	ds_write_b64 v103, v[34:35] offset:1056
	ds_write2_b64 v104, v[50:51], v[52:53] offset1:66
	ds_write_b64 v104, v[48:49] offset:1056
	s_and_saveexec_b64 s[14:15], s[2:3]
	s_cbranch_execz .LBB0_15
; %bb.14:
	v_add_f32_e32 v32, v47, v56
	v_add_f32_e32 v33, v32, v57
	;; [unrolled: 1-line block ×4, first 2 shown]
	v_add_u32_e32 v34, 0x3400, v101
	ds_write2_b64 v34, v[32:33], v[83:84] offset0:118 offset1:184
	ds_write_b64 v101, v[81:82] offset:15312
.LBB0_15:
	s_or_b64 exec, exec, s[14:15]
	v_lshlrev_b32_e32 v71, 5, v88
	s_waitcnt lgkmcnt(0)
	s_barrier
	global_load_dwordx4 v[36:39], v71, s[12:13] offset:1496
	global_load_dwordx4 v[32:35], v71, s[12:13] offset:1512
	v_add_u32_e32 v85, 0xc00, v89
	ds_read2_b64 v[40:43], v89 offset1:198
	v_add_u32_e32 v86, 0x1800, v89
	v_add_u32_e32 v109, 0x2400, v89
	;; [unrolled: 1-line block ×3, first 2 shown]
	ds_read2_b64 v[44:47], v85 offset0:12 offset1:210
	ds_read2_b64 v[48:51], v86 offset0:24 offset1:222
	;; [unrolled: 1-line block ×4, first 2 shown]
	v_mov_b32_e32 v72, s13
	v_add_co_u32_e32 v71, vcc, s12, v71
	v_addc_co_u32_e32 v72, vcc, 0, v72, vcc
	s_waitcnt vmcnt(0) lgkmcnt(0)
	s_barrier
	s_movk_i32 s12, 0x1000
	s_movk_i32 s14, 0x3000
	v_mul_f32_e32 v73, v45, v37
	v_mul_f32_e32 v75, v49, v39
	;; [unrolled: 1-line block ×10, first 2 shown]
	v_fma_f32 v44, v44, v36, -v73
	v_fma_f32 v73, v48, v38, -v75
	v_fmac_f32_e32 v76, v49, v38
	v_fma_f32 v49, v52, v32, -v77
	v_fma_f32 v52, v56, v34, -v79
	v_mul_f32_e32 v106, v46, v37
	v_mul_f32_e32 v107, v51, v39
	;; [unrolled: 1-line block ×4, first 2 shown]
	v_fmac_f32_e32 v80, v57, v34
	v_fma_f32 v57, v46, v36, -v105
	v_fmac_f32_e32 v108, v51, v38
	v_add_f32_e32 v46, v73, v49
	v_add_f32_e32 v51, v44, v52
	v_mul_f32_e32 v112, v54, v33
	v_mul_f32_e32 v113, v59, v35
	v_fmac_f32_e32 v74, v45, v36
	v_fmac_f32_e32 v78, v53, v32
	v_fma_f32 v75, v50, v38, -v107
	v_fma_f32 v77, v54, v32, -v111
	v_fmac_f32_e32 v114, v59, v34
	v_add_f32_e32 v45, v40, v44
	v_sub_f32_e32 v48, v44, v73
	v_sub_f32_e32 v50, v52, v49
	;; [unrolled: 1-line block ×4, first 2 shown]
	v_fma_f32 v44, -0.5, v46, v40
	v_fma_f32 v40, -0.5, v51, v40
	v_fma_f32 v79, v58, v34, -v113
	v_sub_f32_e32 v53, v76, v78
	v_add_f32_e32 v58, v76, v78
	v_add_f32_e32 v107, v48, v50
	v_mov_b32_e32 v48, v40
	v_fmac_f32_e32 v106, v47, v36
	v_sub_f32_e32 v47, v74, v80
	v_add_f32_e32 v56, v41, v74
	v_add_f32_e32 v105, v45, v73
	v_fma_f32 v45, -0.5, v58, v41
	v_mov_b32_e32 v46, v44
	v_fmac_f32_e32 v40, 0x3f737871, v53
	v_fmac_f32_e32 v48, 0xbf737871, v53
	;; [unrolled: 1-line block ×3, first 2 shown]
	v_sub_f32_e32 v55, v49, v52
	v_add_f32_e32 v50, v56, v76
	v_add_f32_e32 v51, v105, v49
	v_fmac_f32_e32 v44, 0xbf737871, v47
	v_fmac_f32_e32 v46, 0x3f737871, v47
	;; [unrolled: 1-line block ×4, first 2 shown]
	v_mov_b32_e32 v47, v45
	v_add_f32_e32 v54, v54, v55
	v_add_f32_e32 v55, v50, v78
	;; [unrolled: 1-line block ×3, first 2 shown]
	v_fmac_f32_e32 v44, 0xbf167918, v53
	v_fmac_f32_e32 v46, 0x3f167918, v53
	;; [unrolled: 1-line block ×3, first 2 shown]
	v_sub_f32_e32 v52, v73, v49
	v_sub_f32_e32 v49, v74, v76
	;; [unrolled: 1-line block ×3, first 2 shown]
	v_fmac_f32_e32 v45, 0x3f737871, v59
	v_fmac_f32_e32 v47, 0xbf167918, v52
	v_add_f32_e32 v49, v49, v53
	v_fmac_f32_e32 v45, 0x3f167918, v52
	v_fmac_f32_e32 v47, 0x3e9e377a, v49
	;; [unrolled: 1-line block ×3, first 2 shown]
	v_add_f32_e32 v49, v74, v80
	v_fma_f32 v41, -0.5, v49, v41
	v_mov_b32_e32 v49, v41
	v_fmac_f32_e32 v40, 0x3e9e377a, v54
	v_fmac_f32_e32 v48, 0x3e9e377a, v54
	;; [unrolled: 1-line block ×3, first 2 shown]
	v_sub_f32_e32 v53, v76, v74
	v_sub_f32_e32 v54, v78, v80
	v_fmac_f32_e32 v41, 0xbf737871, v52
	v_fmac_f32_e32 v49, 0xbf167918, v59
	v_add_f32_e32 v53, v53, v54
	v_fmac_f32_e32 v41, 0x3f167918, v59
	v_fmac_f32_e32 v49, 0x3e9e377a, v53
	;; [unrolled: 1-line block ×3, first 2 shown]
	v_add_f32_e32 v53, v75, v77
	v_fma_f32 v54, -0.5, v53, v42
	v_sub_f32_e32 v53, v106, v114
	v_mov_b32_e32 v56, v54
	v_add_f32_e32 v51, v55, v80
	v_fmac_f32_e32 v56, 0x3f737871, v53
	v_sub_f32_e32 v55, v108, v112
	v_sub_f32_e32 v58, v57, v75
	v_sub_f32_e32 v59, v79, v77
	v_fmac_f32_e32 v54, 0xbf737871, v53
	v_fmac_f32_e32 v56, 0x3f167918, v55
	v_add_f32_e32 v58, v58, v59
	v_fmac_f32_e32 v54, 0xbf167918, v55
	v_fmac_f32_e32 v56, 0x3e9e377a, v58
	;; [unrolled: 1-line block ×3, first 2 shown]
	v_add_f32_e32 v58, v57, v79
	v_add_f32_e32 v52, v42, v57
	v_fma_f32 v42, -0.5, v58, v42
	v_mov_b32_e32 v58, v42
	v_fmac_f32_e32 v58, 0xbf737871, v55
	v_fmac_f32_e32 v42, 0x3f737871, v55
	v_add_f32_e32 v55, v108, v112
	v_sub_f32_e32 v59, v75, v57
	v_sub_f32_e32 v73, v77, v79
	v_fma_f32 v55, -0.5, v55, v43
	v_fmac_f32_e32 v58, 0x3f167918, v53
	v_add_f32_e32 v59, v59, v73
	v_fmac_f32_e32 v42, 0xbf167918, v53
	v_sub_f32_e32 v73, v57, v79
	v_mov_b32_e32 v57, v55
	v_add_f32_e32 v52, v52, v75
	v_fmac_f32_e32 v58, 0x3e9e377a, v59
	v_fmac_f32_e32 v42, 0x3e9e377a, v59
	;; [unrolled: 1-line block ×3, first 2 shown]
	v_sub_f32_e32 v74, v75, v77
	v_sub_f32_e32 v59, v106, v108
	;; [unrolled: 1-line block ×3, first 2 shown]
	v_fmac_f32_e32 v55, 0x3f737871, v73
	v_fmac_f32_e32 v57, 0xbf167918, v74
	v_add_f32_e32 v59, v59, v75
	v_fmac_f32_e32 v55, 0x3f167918, v74
	v_fmac_f32_e32 v57, 0x3e9e377a, v59
	;; [unrolled: 1-line block ×3, first 2 shown]
	v_add_f32_e32 v59, v106, v114
	v_add_f32_e32 v53, v43, v106
	v_fmac_f32_e32 v43, -0.5, v59
	v_mov_b32_e32 v59, v43
	v_add_f32_e32 v53, v53, v108
	v_fmac_f32_e32 v59, 0x3f737871, v74
	v_sub_f32_e32 v75, v108, v106
	v_sub_f32_e32 v76, v112, v114
	v_fmac_f32_e32 v43, 0xbf737871, v74
	v_fmac_f32_e32 v46, 0x3e9e377a, v107
	v_add_f32_e32 v52, v52, v77
	v_add_f32_e32 v53, v53, v112
	v_fmac_f32_e32 v59, 0xbf167918, v73
	v_add_f32_e32 v75, v75, v76
	v_fmac_f32_e32 v43, 0x3f167918, v73
	v_fmac_f32_e32 v44, 0x3e9e377a, v107
	v_add_f32_e32 v52, v52, v79
	v_add_f32_e32 v53, v53, v114
	v_fmac_f32_e32 v59, 0x3e9e377a, v75
	v_fmac_f32_e32 v43, 0x3e9e377a, v75
	ds_write2_b64 v89, v[50:51], v[46:47] offset1:198
	ds_write2_b64 v85, v[48:49], v[40:41] offset0:12 offset1:210
	ds_write2_b64 v86, v[44:45], v[52:53] offset0:24 offset1:222
	;; [unrolled: 1-line block ×4, first 2 shown]
	v_mul_i32_i24_e32 v41, 0xffffffe8, v88
	v_mul_hi_i32_i24_e32 v40, 0xffffffe8, v88
	v_add_co_u32_e32 v42, vcc, v71, v41
	v_addc_co_u32_e32 v43, vcc, v72, v40, vcc
	v_add_co_u32_e32 v40, vcc, s12, v42
	v_addc_co_u32_e32 v41, vcc, 0, v43, vcc
	s_movk_i32 s12, 0x2000
	s_waitcnt lgkmcnt(0)
	s_barrier
	global_load_dwordx2 v[71:72], v[40:41], off offset:3736
	v_add_co_u32_e32 v40, vcc, s12, v42
	v_addc_co_u32_e32 v41, vcc, 0, v43, vcc
	global_load_dwordx2 v[73:74], v[40:41], off offset:1224
	global_load_dwordx2 v[75:76], v[40:41], off offset:2808
	v_add_co_u32_e32 v40, vcc, s14, v42
	v_addc_co_u32_e32 v41, vcc, 0, v43, vcc
	global_load_dwordx2 v[77:78], v[40:41], off offset:296
	global_load_dwordx2 v[79:80], v[40:41], off offset:1880
	ds_read2_b64 v[56:59], v86 offset0:24 offset1:222
	ds_read2_b64 v[46:49], v89 offset1:198
	ds_read2_b64 v[40:43], v109 offset0:36 offset1:234
	ds_read2_b64 v[105:108], v85 offset0:12 offset1:210
	;; [unrolled: 1-line block ×3, first 2 shown]
	s_waitcnt vmcnt(4) lgkmcnt(4)
	v_mul_f32_e32 v44, v59, v72
	v_fma_f32 v44, v58, v71, -v44
	v_mul_f32_e32 v45, v58, v72
	v_fmac_f32_e32 v45, v59, v71
	s_waitcnt vmcnt(3) lgkmcnt(2)
	v_mul_f32_e32 v54, v41, v74
	v_fma_f32 v54, v40, v73, -v54
	v_mul_f32_e32 v55, v40, v74
	s_waitcnt vmcnt(2)
	v_mul_f32_e32 v40, v43, v76
	v_fma_f32 v58, v42, v75, -v40
	s_waitcnt vmcnt(1) lgkmcnt(0)
	v_mul_f32_e32 v40, v51, v78
	v_mul_f32_e32 v59, v42, v76
	v_fma_f32 v111, v50, v77, -v40
	v_mul_f32_e32 v112, v50, v78
	s_waitcnt vmcnt(0)
	v_mul_f32_e32 v40, v53, v80
	v_mul_f32_e32 v114, v52, v80
	v_fmac_f32_e32 v55, v41, v73
	v_fmac_f32_e32 v59, v43, v75
	;; [unrolled: 1-line block ×3, first 2 shown]
	v_fma_f32 v113, v52, v79, -v40
	v_fmac_f32_e32 v114, v53, v79
	v_sub_f32_e32 v42, v46, v44
	v_sub_f32_e32 v43, v47, v45
	v_fma_f32 v40, v46, 2.0, -v42
	v_fma_f32 v41, v47, 2.0, -v43
	v_sub_f32_e32 v46, v48, v54
	v_sub_f32_e32 v47, v49, v55
	;; [unrolled: 1-line block ×8, first 2 shown]
	v_fma_f32 v44, v48, 2.0, -v46
	v_fma_f32 v45, v49, 2.0, -v47
	;; [unrolled: 1-line block ×8, first 2 shown]
	ds_write2_b64 v89, v[40:41], v[44:45] offset1:198
	ds_write2_b64 v109, v[46:47], v[50:51] offset0:36 offset1:234
	ds_write2_b64 v85, v[48:49], v[52:53] offset0:12 offset1:210
	;; [unrolled: 1-line block ×4, first 2 shown]
	s_waitcnt lgkmcnt(0)
	s_barrier
	s_and_saveexec_b64 s[12:13], s[0:1]
	s_cbranch_execz .LBB0_17
; %bb.16:
	v_add_co_u32_e32 v113, vcc, s10, v87
	v_mov_b32_e32 v85, s11
	v_addc_co_u32_e32 v114, vcc, 0, v85, vcc
	v_add_co_u32_e32 v109, vcc, 0x3de0, v113
	v_addc_co_u32_e32 v110, vcc, 0, v114, vcc
	v_add_co_u32_e32 v105, vcc, s14, v113
	v_addc_co_u32_e32 v106, vcc, 0, v114, vcc
	global_load_dwordx2 v[105:106], v[105:106], off offset:3552
	ds_read_b64 v[85:86], v89
	v_add_u32_e32 v115, 0x400, v87
	s_movk_i32 s14, 0x4000
	s_waitcnt vmcnt(0) lgkmcnt(0)
	v_mul_f32_e32 v107, v86, v106
	v_mul_f32_e32 v108, v85, v106
	v_fma_f32 v107, v85, v105, -v107
	v_fmac_f32_e32 v108, v86, v105
	global_load_dwordx2 v[85:86], v[109:110], off offset:1440
	ds_write_b64 v89, v[107:108]
	ds_read2_b64 v[105:108], v115 offset0:52 offset1:232
	s_waitcnt vmcnt(0) lgkmcnt(0)
	v_mul_f32_e32 v111, v106, v86
	v_mul_f32_e32 v112, v105, v86
	v_fma_f32 v111, v105, v85, -v111
	v_fmac_f32_e32 v112, v106, v85
	global_load_dwordx2 v[85:86], v[109:110], off offset:2880
	s_waitcnt vmcnt(0)
	v_mul_f32_e32 v105, v108, v86
	v_mul_f32_e32 v106, v107, v86
	v_fma_f32 v105, v107, v85, -v105
	v_fmac_f32_e32 v106, v108, v85
	v_add_co_u32_e32 v85, vcc, s14, v113
	v_addc_co_u32_e32 v86, vcc, 0, v114, vcc
	global_load_dwordx2 v[85:86], v[85:86], off offset:3776
	ds_write2_b64 v115, v[111:112], v[105:106] offset0:52 offset1:232
	v_add_u32_e32 v115, 0x1000, v87
	ds_read2_b64 v[105:108], v115 offset0:28 offset1:208
	s_movk_i32 s14, 0x5000
	s_waitcnt vmcnt(0) lgkmcnt(0)
	v_mul_f32_e32 v109, v106, v86
	v_mul_f32_e32 v110, v105, v86
	v_fma_f32 v109, v105, v85, -v109
	v_fmac_f32_e32 v110, v106, v85
	v_add_co_u32_e32 v85, vcc, s14, v113
	v_addc_co_u32_e32 v86, vcc, 0, v114, vcc
	global_load_dwordx2 v[105:106], v[85:86], off offset:1120
	s_movk_i32 s14, 0x6000
	s_waitcnt vmcnt(0)
	v_mul_f32_e32 v111, v108, v106
	v_mul_f32_e32 v112, v107, v106
	v_fma_f32 v111, v107, v105, -v111
	v_fmac_f32_e32 v112, v108, v105
	ds_write2_b64 v115, v[109:110], v[111:112] offset0:28 offset1:208
	global_load_dwordx2 v[109:110], v[85:86], off offset:2560
	v_add_u32_e32 v115, 0x1c00, v87
	global_load_dwordx2 v[85:86], v[85:86], off offset:4000
	ds_read2_b64 v[105:108], v115 offset0:4 offset1:184
	s_waitcnt vmcnt(1) lgkmcnt(0)
	v_mul_f32_e32 v111, v106, v110
	v_mul_f32_e32 v112, v105, v110
	v_fma_f32 v111, v105, v109, -v111
	v_fmac_f32_e32 v112, v106, v109
	s_waitcnt vmcnt(0)
	v_mul_f32_e32 v105, v108, v86
	v_mul_f32_e32 v106, v107, v86
	v_fma_f32 v105, v107, v85, -v105
	v_fmac_f32_e32 v106, v108, v85
	v_add_co_u32_e32 v85, vcc, s14, v113
	v_addc_co_u32_e32 v86, vcc, 0, v114, vcc
	global_load_dwordx2 v[109:110], v[85:86], off offset:1344
	ds_write2_b64 v115, v[111:112], v[105:106] offset0:4 offset1:184
	global_load_dwordx2 v[85:86], v[85:86], off offset:2784
	v_add_u32_e32 v115, 0x2600, v87
	ds_read2_b64 v[105:108], v115 offset0:44 offset1:224
	s_movk_i32 s14, 0x7000
	s_waitcnt vmcnt(1) lgkmcnt(0)
	v_mul_f32_e32 v111, v106, v110
	v_mul_f32_e32 v112, v105, v110
	v_fma_f32 v111, v105, v109, -v111
	v_fmac_f32_e32 v112, v106, v109
	s_waitcnt vmcnt(0)
	v_mul_f32_e32 v105, v108, v86
	v_mul_f32_e32 v106, v107, v86
	v_fma_f32 v105, v107, v85, -v105
	v_fmac_f32_e32 v106, v108, v85
	v_add_co_u32_e32 v85, vcc, s14, v113
	v_addc_co_u32_e32 v86, vcc, 0, v114, vcc
	global_load_dwordx2 v[109:110], v[85:86], off offset:128
	ds_write2_b64 v115, v[111:112], v[105:106] offset0:44 offset1:224
	global_load_dwordx2 v[85:86], v[85:86], off offset:1568
	v_add_u32_e32 v115, 0x3200, v87
	ds_read2_b64 v[105:108], v115 offset0:20 offset1:200
	s_waitcnt vmcnt(1) lgkmcnt(0)
	v_mul_f32_e32 v111, v106, v110
	v_mul_f32_e32 v112, v105, v110
	v_fma_f32 v111, v105, v109, -v111
	v_fmac_f32_e32 v112, v106, v109
	s_waitcnt vmcnt(0)
	v_mul_f32_e32 v105, v108, v86
	v_mul_f32_e32 v106, v107, v86
	v_fma_f32 v105, v107, v85, -v105
	v_fmac_f32_e32 v106, v108, v85
	ds_write2_b64 v115, v[111:112], v[105:106] offset0:20 offset1:200
.LBB0_17:
	s_or_b64 exec, exec, s[12:13]
	s_waitcnt lgkmcnt(0)
	s_barrier
	s_and_saveexec_b64 s[12:13], s[0:1]
	s_cbranch_execz .LBB0_19
; %bb.18:
	v_add_u32_e32 v44, 0xa00, v89
	v_add_u32_e32 v48, 0x1600, v89
	;; [unrolled: 1-line block ×4, first 2 shown]
	ds_read2_b64 v[40:43], v89 offset1:180
	ds_read2_b64 v[44:47], v44 offset0:40 offset1:220
	ds_read2_b64 v[48:51], v48 offset0:16 offset1:196
	;; [unrolled: 1-line block ×4, first 2 shown]
	ds_read_b64 v[83:84], v89 offset:14400
.LBB0_19:
	s_or_b64 exec, exec, s[12:13]
	s_waitcnt lgkmcnt(0)
	v_sub_f32_e32 v120, v43, v84
	v_add_f32_e32 v105, v83, v42
	v_add_f32_e32 v127, v84, v43
	s_mov_b32 s14, 0x3f575c64
	v_mul_f32_e32 v115, 0xbf0a6770, v120
	v_sub_f32_e32 v123, v45, v59
	v_mul_f32_e32 v117, 0x3f575c64, v127
	v_fma_f32 v85, v105, s14, -v115
	v_add_f32_e32 v106, v58, v44
	v_add_f32_e32 v130, v59, v45
	s_mov_b32 s15, 0x3ed4b147
	v_mul_f32_e32 v116, 0xbf68dda4, v123
	v_sub_f32_e32 v107, v42, v83
	v_add_f32_e32 v85, v40, v85
	v_mov_b32_e32 v86, v117
	v_mul_f32_e32 v119, 0x3ed4b147, v130
	v_fma_f32 v108, v106, s15, -v116
	v_fmac_f32_e32 v86, 0xbf0a6770, v107
	v_sub_f32_e32 v109, v44, v58
	v_add_f32_e32 v85, v108, v85
	v_mov_b32_e32 v108, v119
	v_add_f32_e32 v86, v41, v86
	v_fmac_f32_e32 v108, 0xbf68dda4, v109
	v_sub_f32_e32 v126, v47, v57
	v_add_f32_e32 v86, v108, v86
	v_add_f32_e32 v108, v56, v46
	v_add_f32_e32 v132, v57, v47
	s_mov_b32 s16, 0xbe11bafb
	v_mul_f32_e32 v118, 0xbf7d64f0, v126
	v_mul_f32_e32 v122, 0xbe11bafb, v132
	v_fma_f32 v110, v108, s16, -v118
	v_sub_f32_e32 v111, v46, v56
	v_add_f32_e32 v85, v110, v85
	v_mov_b32_e32 v110, v122
	v_fmac_f32_e32 v110, 0xbf7d64f0, v111
	v_sub_f32_e32 v129, v49, v55
	v_add_f32_e32 v86, v110, v86
	v_add_f32_e32 v110, v54, v48
	v_add_f32_e32 v133, v55, v49
	s_mov_b32 s17, 0xbf27a4f4
	v_mul_f32_e32 v121, 0xbf4178ce, v129
	v_mul_f32_e32 v125, 0xbf27a4f4, v133
	v_fma_f32 v112, v110, s17, -v121
	v_sub_f32_e32 v113, v48, v54
	v_add_f32_e32 v85, v112, v85
	v_mov_b32_e32 v112, v125
	;; [unrolled: 12-line block ×3, first 2 shown]
	v_fmac_f32_e32 v135, 0xbe903f40, v114
	v_add_f32_e32 v86, v135, v86
	s_barrier
	s_and_saveexec_b64 s[12:13], s[0:1]
	s_cbranch_execz .LBB0_21
; %bb.20:
	v_mul_f32_e32 v143, 0xbf7d64f0, v107
	v_mov_b32_e32 v135, v143
	v_mul_f32_e32 v144, 0x3e903f40, v109
	v_fmac_f32_e32 v135, 0xbe11bafb, v127
	v_mov_b32_e32 v136, v144
	v_add_f32_e32 v135, v41, v135
	v_fmac_f32_e32 v136, 0xbf75a155, v130
	v_mul_f32_e32 v155, 0x3f68dda4, v111
	v_add_f32_e32 v135, v136, v135
	v_mov_b32_e32 v136, v155
	v_fmac_f32_e32 v136, 0x3ed4b147, v132
	v_mul_f32_e32 v156, 0xbf0a6770, v113
	v_add_f32_e32 v135, v136, v135
	v_mov_b32_e32 v136, v156
	;; [unrolled: 4-line block ×3, first 2 shown]
	v_fmac_f32_e32 v136, 0xbf27a4f4, v134
	v_mul_f32_e32 v158, 0xbf7d64f0, v120
	v_add_f32_e32 v136, v136, v135
	v_fma_f32 v135, v105, s16, -v158
	v_mul_f32_e32 v159, 0x3e903f40, v123
	v_add_f32_e32 v135, v40, v135
	v_fma_f32 v137, v106, s18, -v159
	;; [unrolled: 3-line block ×5, first 2 shown]
	v_mul_f32_e32 v139, 0xbe903f40, v107
	v_add_f32_e32 v135, v137, v135
	v_mov_b32_e32 v137, v139
	v_mul_f32_e32 v140, 0x3f0a6770, v109
	v_fmac_f32_e32 v137, 0xbf75a155, v127
	v_mov_b32_e32 v138, v140
	v_add_f32_e32 v137, v41, v137
	v_fmac_f32_e32 v138, 0x3f575c64, v130
	v_mul_f32_e32 v141, 0xbf4178ce, v111
	v_add_f32_e32 v137, v138, v137
	v_mov_b32_e32 v138, v141
	v_fmac_f32_e32 v138, 0xbf27a4f4, v132
	v_mul_f32_e32 v142, 0x3f68dda4, v113
	v_add_f32_e32 v137, v138, v137
	v_mov_b32_e32 v138, v142
	v_fma_f32 v139, v127, s18, -v139
	v_fmac_f32_e32 v138, 0x3ed4b147, v133
	v_mul_f32_e32 v163, 0xbf7d64f0, v114
	v_add_f32_e32 v139, v41, v139
	v_fma_f32 v140, v130, s14, -v140
	v_add_f32_e32 v137, v138, v137
	v_mov_b32_e32 v138, v163
	v_add_f32_e32 v139, v140, v139
	v_fma_f32 v140, v132, s17, -v141
	v_fmac_f32_e32 v138, 0xbe11bafb, v134
	v_mul_f32_e32 v164, 0xbe903f40, v120
	v_add_f32_e32 v139, v140, v139
	v_fma_f32 v140, v133, s15, -v142
	v_add_f32_e32 v138, v138, v137
	v_fma_f32 v137, v105, s18, -v164
	;; [unrolled: 2-line block ×3, first 2 shown]
	v_fmac_f32_e32 v164, 0xbf75a155, v105
	v_mul_f32_e32 v163, 0xbf27a4f4, v127
	v_mul_f32_e32 v165, 0x3f0a6770, v123
	v_add_f32_e32 v140, v140, v139
	v_add_f32_e32 v139, v40, v164
	v_mov_b32_e32 v141, v163
	v_mul_f32_e32 v164, 0xbe11bafb, v130
	v_add_f32_e32 v137, v40, v137
	v_fma_f32 v166, v106, s14, -v165
	v_fmac_f32_e32 v165, 0x3f575c64, v106
	v_fmac_f32_e32 v141, 0x3f4178ce, v107
	v_mov_b32_e32 v142, v164
	v_add_f32_e32 v137, v166, v137
	v_mul_f32_e32 v166, 0xbf4178ce, v126
	v_add_f32_e32 v139, v165, v139
	v_add_f32_e32 v141, v41, v141
	v_fmac_f32_e32 v142, 0xbf7d64f0, v109
	v_mul_f32_e32 v165, 0x3f575c64, v132
	v_fma_f32 v167, v108, s17, -v166
	v_fmac_f32_e32 v166, 0xbf27a4f4, v108
	v_add_f32_e32 v141, v142, v141
	v_mov_b32_e32 v142, v165
	v_add_f32_e32 v137, v167, v137
	v_mul_f32_e32 v167, 0x3f68dda4, v129
	v_add_f32_e32 v139, v166, v139
	v_fmac_f32_e32 v142, 0x3f0a6770, v111
	v_mul_f32_e32 v166, 0xbf75a155, v133
	v_fma_f32 v143, v127, s16, -v143
	v_fma_f32 v168, v110, s15, -v167
	v_fmac_f32_e32 v167, 0x3ed4b147, v110
	v_add_f32_e32 v141, v142, v141
	v_mov_b32_e32 v142, v166
	v_add_f32_e32 v143, v41, v143
	v_fma_f32 v144, v130, s18, -v144
	v_add_f32_e32 v137, v168, v137
	v_mul_f32_e32 v168, 0xbf7d64f0, v131
	v_add_f32_e32 v139, v167, v139
	v_fmac_f32_e32 v142, 0x3e903f40, v113
	v_mul_f32_e32 v167, 0x3ed4b147, v134
	v_add_f32_e32 v143, v144, v143
	v_fma_f32 v144, v132, s15, -v155
	v_mul_f32_e32 v155, 0x3ed4b147, v127
	v_fma_f32 v169, v112, s16, -v168
	v_fmac_f32_e32 v168, 0xbe11bafb, v112
	v_add_f32_e32 v141, v142, v141
	v_mov_b32_e32 v142, v167
	v_mov_b32_e32 v127, v155
	v_mul_f32_e32 v130, 0xbf27a4f4, v130
	v_add_f32_e32 v139, v168, v139
	v_fmac_f32_e32 v142, 0xbf68dda4, v114
	v_mul_f32_e32 v168, 0xbf4178ce, v120
	v_add_f32_e32 v143, v144, v143
	v_fma_f32 v144, v133, s14, -v156
	v_fmac_f32_e32 v127, 0x3f68dda4, v107
	v_mov_b32_e32 v156, v130
	v_add_f32_e32 v137, v169, v137
	v_add_f32_e32 v142, v142, v141
	v_mov_b32_e32 v141, v168
	v_mul_f32_e32 v169, 0x3f7d64f0, v123
	v_add_f32_e32 v127, v41, v127
	v_fmac_f32_e32 v156, 0x3f4178ce, v109
	v_mul_f32_e32 v132, 0xbf75a155, v132
	v_fmac_f32_e32 v141, 0xbf27a4f4, v105
	v_mov_b32_e32 v170, v169
	v_add_f32_e32 v127, v156, v127
	v_mov_b32_e32 v156, v132
	v_add_f32_e32 v42, v42, v40
	v_fmac_f32_e32 v163, 0xbf4178ce, v107
	v_add_f32_e32 v141, v40, v141
	v_fmac_f32_e32 v170, 0xbe11bafb, v106
	v_fmac_f32_e32 v156, 0xbe903f40, v111
	v_mul_f32_e32 v133, 0xbe11bafb, v133
	v_add_f32_e32 v42, v44, v42
	v_add_f32_e32 v44, v41, v163
	v_fmac_f32_e32 v164, 0x3f7d64f0, v109
	v_add_f32_e32 v141, v170, v141
	v_mul_f32_e32 v170, 0xbf0a6770, v126
	v_add_f32_e32 v127, v156, v127
	v_mov_b32_e32 v156, v133
	v_add_f32_e32 v44, v164, v44
	v_fmac_f32_e32 v165, 0xbf0a6770, v111
	v_mov_b32_e32 v171, v170
	v_add_f32_e32 v143, v144, v143
	v_fma_f32 v144, v134, s17, -v157
	v_fmac_f32_e32 v156, 0xbf7d64f0, v113
	v_mul_f32_e32 v134, 0x3f575c64, v134
	v_add_f32_e32 v44, v165, v44
	v_fmac_f32_e32 v166, 0xbe903f40, v113
	v_fmac_f32_e32 v171, 0x3f575c64, v108
	v_add_f32_e32 v127, v156, v127
	v_mov_b32_e32 v156, v134
	v_add_f32_e32 v43, v43, v41
	v_add_f32_e32 v44, v166, v44
	v_fmac_f32_e32 v167, 0x3f68dda4, v114
	v_add_f32_e32 v141, v171, v141
	v_mul_f32_e32 v171, 0xbe903f40, v129
	v_fmac_f32_e32 v156, 0xbf0a6770, v114
	v_mul_f32_e32 v120, 0xbf68dda4, v120
	v_add_f32_e32 v43, v45, v43
	v_add_f32_e32 v45, v167, v44
	v_fma_f32 v44, v105, s17, -v168
	v_mov_b32_e32 v172, v171
	v_add_f32_e32 v127, v156, v127
	v_mov_b32_e32 v156, v120
	v_mul_f32_e32 v123, 0xbf4178ce, v123
	v_add_f32_e32 v42, v46, v42
	v_add_f32_e32 v44, v40, v44
	v_fma_f32 v46, v106, s16, -v169
	v_fmac_f32_e32 v172, 0xbf75a155, v110
	v_fmac_f32_e32 v156, 0x3ed4b147, v105
	v_mov_b32_e32 v157, v123
	v_add_f32_e32 v44, v46, v44
	v_fma_f32 v46, v108, s14, -v170
	v_add_f32_e32 v141, v172, v141
	v_mul_f32_e32 v172, 0x3f68dda4, v131
	v_add_f32_e32 v156, v40, v156
	v_fmac_f32_e32 v157, 0xbf27a4f4, v106
	v_add_f32_e32 v43, v47, v43
	v_add_f32_e32 v44, v46, v44
	v_fma_f32 v46, v110, s18, -v171
	v_mul_f32_e32 v145, 0x3f575c64, v105
	v_mul_f32_e32 v146, 0xbf0a6770, v107
	v_add_f32_e32 v156, v157, v156
	v_mul_f32_e32 v157, 0x3e903f40, v126
	v_add_f32_e32 v43, v49, v43
	v_add_f32_e32 v42, v48, v42
	;; [unrolled: 1-line block ×3, first 2 shown]
	v_fma_f32 v46, v112, s15, -v172
	v_mul_f32_e32 v147, 0x3ed4b147, v106
	v_mul_f32_e32 v148, 0xbf68dda4, v109
	v_fmac_f32_e32 v158, 0xbe11bafb, v105
	v_mov_b32_e32 v126, v157
	v_sub_f32_e32 v117, v117, v146
	v_add_f32_e32 v115, v145, v115
	v_add_f32_e32 v43, v51, v43
	;; [unrolled: 1-line block ×4, first 2 shown]
	v_fma_f32 v46, v105, s15, -v120
	v_mul_f32_e32 v149, 0xbe11bafb, v108
	v_mul_f32_e32 v150, 0xbf7d64f0, v111
	v_add_f32_e32 v144, v144, v143
	v_add_f32_e32 v143, v40, v158
	v_fmac_f32_e32 v126, 0xbf75a155, v108
	v_mul_f32_e32 v129, 0x3f7d64f0, v129
	v_add_f32_e32 v117, v41, v117
	v_sub_f32_e32 v119, v119, v148
	v_add_f32_e32 v115, v40, v115
	v_add_f32_e32 v116, v147, v116
	;; [unrolled: 1-line block ×4, first 2 shown]
	v_fmac_f32_e32 v155, 0xbf68dda4, v107
	v_add_f32_e32 v40, v40, v46
	v_fma_f32 v46, v106, s17, -v123
	v_mul_f32_e32 v151, 0xbf27a4f4, v110
	v_mul_f32_e32 v152, 0xbf4178ce, v113
	v_fmac_f32_e32 v159, 0xbf75a155, v106
	v_add_f32_e32 v126, v126, v156
	v_mov_b32_e32 v156, v129
	v_add_f32_e32 v117, v119, v117
	v_sub_f32_e32 v119, v122, v150
	v_add_f32_e32 v115, v116, v115
	v_add_f32_e32 v116, v149, v118
	;; [unrolled: 1-line block ×5, first 2 shown]
	v_fmac_f32_e32 v130, 0xbf4178ce, v109
	v_add_f32_e32 v40, v46, v40
	v_fma_f32 v46, v108, s18, -v157
	v_mul_f32_e32 v153, 0xbf75a155, v112
	v_mul_f32_e32 v154, 0xbe903f40, v114
	v_add_f32_e32 v143, v159, v143
	v_fmac_f32_e32 v160, 0x3ed4b147, v108
	v_fmac_f32_e32 v156, 0xbe11bafb, v110
	v_mul_f32_e32 v131, 0x3f0a6770, v131
	v_add_f32_e32 v117, v119, v117
	v_sub_f32_e32 v119, v125, v152
	v_add_f32_e32 v115, v116, v115
	v_add_f32_e32 v116, v151, v121
	;; [unrolled: 1-line block ×5, first 2 shown]
	v_fmac_f32_e32 v132, 0x3e903f40, v111
	v_add_f32_e32 v40, v46, v40
	v_fma_f32 v46, v110, s16, -v129
	v_mov_b32_e32 v173, v172
	v_add_f32_e32 v143, v160, v143
	v_fmac_f32_e32 v161, 0x3f575c64, v110
	v_add_f32_e32 v126, v156, v126
	v_mov_b32_e32 v156, v131
	v_add_f32_e32 v117, v119, v117
	v_sub_f32_e32 v119, v128, v154
	v_add_f32_e32 v115, v116, v115
	v_add_f32_e32 v116, v153, v124
	;; [unrolled: 1-line block ×5, first 2 shown]
	v_fmac_f32_e32 v133, 0x3f7d64f0, v113
	v_add_f32_e32 v40, v46, v40
	v_fma_f32 v46, v112, s14, -v131
	v_fmac_f32_e32 v173, 0x3ed4b147, v112
	v_add_f32_e32 v143, v161, v143
	v_fmac_f32_e32 v162, 0xbf27a4f4, v112
	v_fmac_f32_e32 v156, 0x3f575c64, v112
	v_add_f32_e32 v117, v119, v117
	v_add_f32_e32 v116, v116, v115
	;; [unrolled: 1-line block ×5, first 2 shown]
	v_fmac_f32_e32 v134, 0x3f0a6770, v114
	v_add_f32_e32 v40, v46, v40
	v_lshlrev_b32_e32 v46, 3, v90
	v_add_f32_e32 v141, v173, v141
	v_add_f32_e32 v143, v162, v143
	;; [unrolled: 1-line block ×4, first 2 shown]
	ds_write2_b64 v46, v[42:43], v[116:117] offset1:1
	ds_write2_b64 v46, v[126:127], v[143:144] offset0:2 offset1:3
	ds_write2_b64 v46, v[141:142], v[139:140] offset0:4 offset1:5
	;; [unrolled: 1-line block ×4, first 2 shown]
	ds_write_b64 v46, v[85:86] offset:80
.LBB0_21:
	s_or_b64 exec, exec, s[12:13]
	v_add_u32_e32 v44, 0x1800, v89
	s_waitcnt lgkmcnt(0)
	s_barrier
	ds_read2_b64 v[44:47], v44 offset0:24 offset1:222
	v_add_u32_e32 v48, 0x2400, v89
	ds_read2_b64 v[48:51], v48 offset0:36 offset1:234
	v_add_u32_e32 v56, 0x3000, v89
	v_add_u32_e32 v52, 0xc00, v89
	ds_read2_b64 v[56:59], v56 offset0:48 offset1:246
	ds_read2_b64 v[52:55], v52 offset0:12 offset1:210
	s_waitcnt lgkmcnt(3)
	v_mul_f32_e32 v83, v70, v47
	ds_read2_b64 v[40:43], v89 offset1:198
	v_fmac_f32_e32 v83, v69, v46
	v_mul_f32_e32 v46, v70, v46
	v_fma_f32 v47, v69, v47, -v46
	s_waitcnt lgkmcnt(3)
	v_mul_f32_e32 v69, v68, v49
	v_mul_f32_e32 v46, v68, v48
	v_fmac_f32_e32 v69, v67, v48
	v_fma_f32 v49, v67, v49, -v46
	v_mul_f32_e32 v67, v66, v51
	v_mul_f32_e32 v46, v66, v50
	v_fmac_f32_e32 v67, v65, v50
	v_fma_f32 v51, v65, v51, -v46
	s_waitcnt lgkmcnt(2)
	v_mul_f32_e32 v65, v64, v57
	v_mul_f32_e32 v46, v64, v56
	;; [unrolled: 1-line block ×3, first 2 shown]
	v_fmac_f32_e32 v65, v63, v56
	v_fma_f32 v63, v63, v57, -v46
	v_fmac_f32_e32 v64, v61, v58
	v_mul_f32_e32 v46, v62, v58
	s_waitcnt lgkmcnt(1)
	v_sub_f32_e32 v50, v52, v67
	v_fma_f32 v61, v61, v59, -v46
	s_waitcnt lgkmcnt(0)
	v_sub_f32_e32 v46, v40, v83
	v_sub_f32_e32 v47, v41, v47
	;; [unrolled: 1-line block ×3, first 2 shown]
	v_fma_f32 v56, v52, 2.0, -v50
	v_sub_f32_e32 v52, v44, v64
	v_fma_f32 v40, v40, 2.0, -v46
	v_fma_f32 v41, v41, 2.0, -v47
	v_sub_f32_e32 v48, v42, v69
	v_sub_f32_e32 v49, v43, v49
	v_fma_f32 v57, v53, 2.0, -v51
	v_sub_f32_e32 v58, v54, v65
	v_sub_f32_e32 v59, v55, v63
	;; [unrolled: 1-line block ×3, first 2 shown]
	v_fma_f32 v44, v44, 2.0, -v52
	v_fma_f32 v42, v42, 2.0, -v48
	;; [unrolled: 1-line block ×6, first 2 shown]
	s_barrier
	ds_write2_b64 v93, v[40:41], v[46:47] offset1:11
	ds_write2_b64 v94, v[42:43], v[48:49] offset1:11
	;; [unrolled: 1-line block ×5, first 2 shown]
	v_add_u32_e32 v44, 0x1400, v89
	s_waitcnt lgkmcnt(0)
	s_barrier
	ds_read2_b64 v[48:51], v44 offset0:20 offset1:218
	v_add_u32_e32 v44, 0x2800, v89
	ds_read2_b64 v[40:43], v89 offset1:198
	ds_read2_b64 v[44:47], v44 offset0:40 offset1:238
	ds_read_b64 v[54:55], v89 offset:3168
	ds_read_b64 v[58:59], v89 offset:8448
	;; [unrolled: 1-line block ×3, first 2 shown]
	s_and_saveexec_b64 s[12:13], s[2:3]
	s_cbranch_execz .LBB0_23
; %bb.22:
	ds_read_b64 v[52:53], v89 offset:4752
	ds_read_b64 v[85:86], v89 offset:10032
	;; [unrolled: 1-line block ×3, first 2 shown]
.LBB0_23:
	s_or_b64 exec, exec, s[12:13]
	s_waitcnt lgkmcnt(5)
	v_mul_f32_e32 v61, v17, v49
	v_mul_f32_e32 v17, v17, v48
	v_fmac_f32_e32 v61, v16, v48
	v_fma_f32 v16, v16, v49, -v17
	s_waitcnt lgkmcnt(3)
	v_mul_f32_e32 v17, v19, v45
	v_mul_f32_e32 v19, v19, v44
	v_fmac_f32_e32 v17, v18, v44
	v_fma_f32 v18, v18, v45, -v19
	v_mul_f32_e32 v19, v13, v51
	v_mul_f32_e32 v13, v13, v50
	;; [unrolled: 1-line block ×3, first 2 shown]
	s_waitcnt lgkmcnt(1)
	v_mul_f32_e32 v45, v1, v59
	v_mul_f32_e32 v1, v1, v58
	v_fmac_f32_e32 v19, v12, v50
	v_fma_f32 v13, v12, v51, -v13
	v_fmac_f32_e32 v44, v14, v46
	v_mul_f32_e32 v12, v15, v46
	v_fmac_f32_e32 v45, v0, v58
	v_fma_f32 v46, v0, v59, -v1
	s_waitcnt lgkmcnt(0)
	v_mul_f32_e32 v0, v3, v56
	v_fma_f32 v14, v14, v47, -v12
	v_mul_f32_e32 v47, v3, v57
	v_fma_f32 v48, v2, v57, -v0
	v_mul_f32_e32 v0, v5, v85
	v_add_f32_e32 v3, v16, v18
	v_fma_f32 v50, v4, v86, -v0
	v_mul_f32_e32 v51, v7, v82
	v_mul_f32_e32 v0, v7, v81
	v_fma_f32 v3, -0.5, v3, v41
	v_fmac_f32_e32 v47, v2, v56
	v_mul_f32_e32 v49, v5, v86
	v_fmac_f32_e32 v51, v6, v81
	v_fma_f32 v56, v6, v82, -v0
	v_sub_f32_e32 v6, v61, v17
	v_mov_b32_e32 v5, v3
	v_add_f32_e32 v7, v19, v44
	v_fmac_f32_e32 v5, 0x3f5db3d7, v6
	v_fmac_f32_e32 v3, 0xbf5db3d7, v6
	v_add_f32_e32 v6, v42, v19
	v_fma_f32 v42, -0.5, v7, v42
	v_sub_f32_e32 v7, v13, v14
	v_mov_b32_e32 v12, v42
	v_fmac_f32_e32 v12, 0xbf5db3d7, v7
	v_fmac_f32_e32 v42, 0x3f5db3d7, v7
	v_add_f32_e32 v7, v43, v13
	v_add_f32_e32 v13, v13, v14
	v_add_f32_e32 v1, v61, v17
	v_fmac_f32_e32 v43, -0.5, v13
	v_fma_f32 v2, -0.5, v1, v40
	v_add_f32_e32 v7, v7, v14
	v_sub_f32_e32 v14, v19, v44
	v_mov_b32_e32 v13, v43
	v_add_f32_e32 v15, v45, v47
	v_fmac_f32_e32 v49, v4, v85
	v_sub_f32_e32 v1, v16, v18
	v_mov_b32_e32 v4, v2
	v_fmac_f32_e32 v13, 0x3f5db3d7, v14
	v_fmac_f32_e32 v43, 0xbf5db3d7, v14
	v_add_f32_e32 v14, v54, v45
	v_fma_f32 v54, -0.5, v15, v54
	v_add_f32_e32 v0, v40, v61
	v_fmac_f32_e32 v4, 0xbf5db3d7, v1
	v_fmac_f32_e32 v2, 0x3f5db3d7, v1
	v_add_f32_e32 v1, v41, v16
	v_sub_f32_e32 v15, v46, v48
	v_mov_b32_e32 v40, v54
	v_add_f32_e32 v16, v46, v48
	v_fmac_f32_e32 v40, 0xbf5db3d7, v15
	v_fmac_f32_e32 v54, 0x3f5db3d7, v15
	v_add_f32_e32 v15, v55, v46
	v_fmac_f32_e32 v55, -0.5, v16
	v_add_f32_e32 v0, v0, v17
	v_sub_f32_e32 v16, v45, v47
	v_mov_b32_e32 v41, v55
	v_add_f32_e32 v17, v49, v51
	v_fmac_f32_e32 v41, 0x3f5db3d7, v16
	v_fmac_f32_e32 v55, 0xbf5db3d7, v16
	v_add_f32_e32 v16, v52, v49
	v_fmac_f32_e32 v52, -0.5, v17
	;; [unrolled: 8-line block ×3, first 2 shown]
	v_add_f32_e32 v6, v6, v44
	v_sub_f32_e32 v44, v49, v51
	v_mov_b32_e32 v19, v53
	v_add_f32_e32 v16, v16, v51
	v_add_f32_e32 v17, v17, v56
	v_fmac_f32_e32 v19, 0x3f5db3d7, v44
	v_fmac_f32_e32 v53, 0xbf5db3d7, v44
	v_add_f32_e32 v14, v14, v47
	v_add_f32_e32 v15, v15, v48
	s_barrier
	ds_write2_b64 v98, v[0:1], v[4:5] offset1:22
	ds_write_b64 v98, v[2:3] offset:352
	ds_write2_b64 v99, v[6:7], v[12:13] offset1:22
	ds_write_b64 v99, v[42:43] offset:352
	;; [unrolled: 2-line block ×3, first 2 shown]
	s_and_saveexec_b64 s[12:13], s[2:3]
	s_cbranch_execz .LBB0_25
; %bb.24:
	s_movk_i32 s14, 0x42
	v_mad_legacy_u16 v0, v91, s14, v92
	v_lshlrev_b32_e32 v0, 3, v0
	ds_write2_b64 v0, v[16:17], v[18:19] offset1:22
	ds_write_b64 v0, v[52:53] offset:352
.LBB0_25:
	s_or_b64 exec, exec, s[12:13]
	v_add_u32_e32 v4, 0x1400, v89
	s_waitcnt lgkmcnt(0)
	s_barrier
	ds_read2_b64 v[12:15], v4 offset0:20 offset1:218
	v_add_u32_e32 v4, 0x2800, v89
	ds_read2_b64 v[0:3], v89 offset1:198
	ds_read2_b64 v[4:7], v4 offset0:40 offset1:238
	ds_read_b64 v[40:41], v89 offset:3168
	ds_read_b64 v[44:45], v89 offset:8448
	;; [unrolled: 1-line block ×3, first 2 shown]
	s_and_saveexec_b64 s[12:13], s[2:3]
	s_cbranch_execz .LBB0_27
; %bb.26:
	ds_read_b64 v[16:17], v89 offset:4752
	ds_read_b64 v[18:19], v89 offset:10032
	;; [unrolled: 1-line block ×3, first 2 shown]
.LBB0_27:
	s_or_b64 exec, exec, s[12:13]
	s_waitcnt lgkmcnt(5)
	v_mul_f32_e32 v46, v25, v13
	v_fmac_f32_e32 v46, v24, v12
	v_mul_f32_e32 v12, v25, v12
	v_fma_f32 v12, v24, v13, -v12
	s_waitcnt lgkmcnt(3)
	v_mul_f32_e32 v13, v27, v5
	v_fmac_f32_e32 v13, v26, v4
	v_mul_f32_e32 v4, v27, v4
	v_fma_f32 v24, v26, v5, -v4
	v_mul_f32_e32 v4, v21, v14
	v_mul_f32_e32 v25, v21, v15
	v_fma_f32 v15, v20, v15, -v4
	v_mul_f32_e32 v4, v23, v6
	v_fma_f32 v21, v22, v7, -v4
	s_waitcnt lgkmcnt(1)
	v_mul_f32_e32 v4, v29, v44
	v_fmac_f32_e32 v25, v20, v14
	v_mul_f32_e32 v20, v23, v7
	v_mul_f32_e32 v23, v29, v45
	v_fma_f32 v26, v28, v45, -v4
	s_waitcnt lgkmcnt(0)
	v_mul_f32_e32 v4, v31, v42
	v_add_f32_e32 v5, v46, v13
	v_fmac_f32_e32 v23, v28, v44
	v_fma_f32 v28, v30, v43, -v4
	v_add_f32_e32 v4, v0, v46
	v_fma_f32 v0, -0.5, v5, v0
	v_fmac_f32_e32 v20, v22, v6
	v_sub_f32_e32 v5, v12, v24
	v_mov_b32_e32 v6, v0
	v_add_f32_e32 v7, v12, v24
	v_fmac_f32_e32 v6, 0xbf5db3d7, v5
	v_fmac_f32_e32 v0, 0x3f5db3d7, v5
	v_add_f32_e32 v5, v1, v12
	v_fma_f32 v1, -0.5, v7, v1
	v_add_f32_e32 v4, v4, v13
	v_sub_f32_e32 v12, v46, v13
	v_mov_b32_e32 v7, v1
	v_add_f32_e32 v13, v25, v20
	v_fmac_f32_e32 v7, 0x3f5db3d7, v12
	v_fmac_f32_e32 v1, 0xbf5db3d7, v12
	v_add_f32_e32 v12, v2, v25
	v_fma_f32 v2, -0.5, v13, v2
	v_sub_f32_e32 v13, v15, v21
	v_mov_b32_e32 v14, v2
	v_mul_f32_e32 v27, v31, v43
	v_fmac_f32_e32 v14, 0xbf5db3d7, v13
	v_fmac_f32_e32 v2, 0x3f5db3d7, v13
	v_add_f32_e32 v13, v3, v15
	v_add_f32_e32 v15, v15, v21
	v_fmac_f32_e32 v27, v30, v42
	v_fmac_f32_e32 v3, -0.5, v15
	v_add_f32_e32 v12, v12, v20
	v_add_f32_e32 v13, v13, v21
	v_sub_f32_e32 v20, v25, v20
	v_mov_b32_e32 v15, v3
	v_add_f32_e32 v21, v23, v27
	v_fmac_f32_e32 v15, 0x3f5db3d7, v20
	v_fmac_f32_e32 v3, 0xbf5db3d7, v20
	v_add_f32_e32 v20, v40, v23
	v_fma_f32 v40, -0.5, v21, v40
	v_add_f32_e32 v5, v5, v24
	v_sub_f32_e32 v21, v26, v28
	v_mov_b32_e32 v22, v40
	v_add_f32_e32 v24, v26, v28
	v_fmac_f32_e32 v22, 0xbf5db3d7, v21
	v_fmac_f32_e32 v40, 0x3f5db3d7, v21
	v_add_f32_e32 v21, v41, v26
	v_fmac_f32_e32 v41, -0.5, v24
	v_sub_f32_e32 v24, v23, v27
	v_mov_b32_e32 v23, v41
	v_add_f32_e32 v20, v20, v27
	v_add_f32_e32 v21, v21, v28
	v_fmac_f32_e32 v23, 0x3f5db3d7, v24
	v_fmac_f32_e32 v41, 0xbf5db3d7, v24
	s_barrier
	ds_write2_b64 v102, v[4:5], v[6:7] offset1:66
	ds_write_b64 v102, v[0:1] offset:1056
	ds_write2_b64 v103, v[12:13], v[14:15] offset1:66
	ds_write_b64 v103, v[2:3] offset:1056
	;; [unrolled: 2-line block ×3, first 2 shown]
	s_and_saveexec_b64 s[12:13], s[2:3]
	s_cbranch_execz .LBB0_29
; %bb.28:
	v_mul_f32_e32 v0, v9, v18
	v_fma_f32 v2, v8, v19, -v0
	v_mul_f32_e32 v0, v11, v52
	v_fma_f32 v4, v10, v53, -v0
	v_add_f32_e32 v0, v2, v4
	v_mul_f32_e32 v6, v9, v19
	v_mul_f32_e32 v7, v11, v53
	v_fma_f32 v1, -0.5, v0, v17
	v_fmac_f32_e32 v6, v8, v18
	v_fmac_f32_e32 v7, v10, v52
	v_sub_f32_e32 v0, v6, v7
	v_mov_b32_e32 v3, v1
	v_fmac_f32_e32 v3, 0xbf5db3d7, v0
	v_fmac_f32_e32 v1, 0x3f5db3d7, v0
	v_add_f32_e32 v0, v17, v2
	v_add_f32_e32 v5, v0, v4
	;; [unrolled: 1-line block ×3, first 2 shown]
	v_fma_f32 v0, -0.5, v0, v16
	v_sub_f32_e32 v4, v2, v4
	v_mov_b32_e32 v2, v0
	v_fmac_f32_e32 v2, 0x3f5db3d7, v4
	v_fmac_f32_e32 v0, 0xbf5db3d7, v4
	v_add_f32_e32 v4, v16, v6
	v_add_f32_e32 v4, v4, v7
	v_add_u32_e32 v6, 0x3400, v101
	ds_write2_b64 v6, v[4:5], v[0:1] offset0:118 offset1:184
	ds_write_b64 v101, v[2:3] offset:15312
.LBB0_29:
	s_or_b64 exec, exec, s[12:13]
	v_add_u32_e32 v20, 0xc00, v89
	s_waitcnt lgkmcnt(0)
	s_barrier
	ds_read2_b64 v[4:7], v20 offset0:12 offset1:210
	v_add_u32_e32 v21, 0x1800, v89
	ds_read2_b64 v[8:11], v21 offset0:24 offset1:222
	v_add_u32_e32 v22, 0x2400, v89
	;; [unrolled: 2-line block ×3, first 2 shown]
	ds_read2_b64 v[16:19], v23 offset0:48 offset1:246
	s_waitcnt lgkmcnt(3)
	v_mul_f32_e32 v24, v37, v5
	ds_read2_b64 v[0:3], v89 offset1:198
	v_fmac_f32_e32 v24, v36, v4
	v_mul_f32_e32 v4, v37, v4
	v_fma_f32 v25, v36, v5, -v4
	s_waitcnt lgkmcnt(3)
	v_mul_f32_e32 v4, v39, v8
	v_mul_f32_e32 v26, v39, v9
	v_fma_f32 v27, v38, v9, -v4
	s_waitcnt lgkmcnt(2)
	v_mul_f32_e32 v28, v33, v13
	v_mul_f32_e32 v4, v33, v12
	v_fmac_f32_e32 v26, v38, v8
	v_fmac_f32_e32 v28, v32, v12
	v_fma_f32 v12, v32, v13, -v4
	s_waitcnt lgkmcnt(1)
	v_mul_f32_e32 v4, v35, v16
	v_mul_f32_e32 v9, v35, v17
	v_fma_f32 v13, v34, v17, -v4
	v_mul_f32_e32 v17, v37, v7
	v_add_f32_e32 v5, v26, v28
	v_fmac_f32_e32 v17, v36, v6
	v_mul_f32_e32 v4, v37, v6
	s_waitcnt lgkmcnt(0)
	v_fma_f32 v6, -0.5, v5, v0
	v_fmac_f32_e32 v9, v34, v16
	v_fma_f32 v29, v36, v7, -v4
	v_mul_f32_e32 v30, v39, v11
	v_mul_f32_e32 v4, v39, v10
	v_sub_f32_e32 v5, v25, v13
	v_mov_b32_e32 v8, v6
	v_fmac_f32_e32 v30, v38, v10
	v_fma_f32 v31, v38, v11, -v4
	v_fmac_f32_e32 v8, 0xbf737871, v5
	v_sub_f32_e32 v7, v27, v12
	v_sub_f32_e32 v10, v24, v26
	v_sub_f32_e32 v11, v9, v28
	v_fmac_f32_e32 v6, 0x3f737871, v5
	v_mul_f32_e32 v36, v33, v15
	v_mul_f32_e32 v4, v33, v14
	v_fmac_f32_e32 v8, 0xbf167918, v7
	v_add_f32_e32 v10, v10, v11
	v_fmac_f32_e32 v6, 0x3f167918, v7
	v_fmac_f32_e32 v36, v32, v14
	v_fma_f32 v32, v32, v15, -v4
	v_mul_f32_e32 v33, v35, v19
	v_mul_f32_e32 v4, v35, v18
	v_fmac_f32_e32 v8, 0x3e9e377a, v10
	v_fmac_f32_e32 v6, 0x3e9e377a, v10
	v_add_f32_e32 v10, v24, v9
	v_fmac_f32_e32 v33, v34, v18
	v_fma_f32 v34, v34, v19, -v4
	v_add_f32_e32 v4, v0, v24
	v_fma_f32 v0, -0.5, v10, v0
	v_mov_b32_e32 v10, v0
	v_add_f32_e32 v4, v4, v26
	v_fmac_f32_e32 v10, 0x3f737871, v7
	v_fmac_f32_e32 v0, 0xbf737871, v7
	v_add_f32_e32 v7, v27, v12
	v_add_f32_e32 v4, v4, v28
	v_sub_f32_e32 v11, v26, v24
	v_sub_f32_e32 v14, v28, v9
	v_fma_f32 v7, -0.5, v7, v1
	v_add_f32_e32 v4, v4, v9
	v_fmac_f32_e32 v10, 0xbf167918, v5
	v_add_f32_e32 v11, v11, v14
	v_fmac_f32_e32 v0, 0x3f167918, v5
	v_sub_f32_e32 v14, v24, v9
	v_mov_b32_e32 v9, v7
	v_fmac_f32_e32 v10, 0x3e9e377a, v11
	v_fmac_f32_e32 v0, 0x3e9e377a, v11
	v_fmac_f32_e32 v9, 0x3f737871, v14
	v_sub_f32_e32 v15, v26, v28
	v_sub_f32_e32 v11, v25, v27
	;; [unrolled: 1-line block ×3, first 2 shown]
	v_fmac_f32_e32 v7, 0xbf737871, v14
	v_fmac_f32_e32 v9, 0x3f167918, v15
	v_add_f32_e32 v11, v11, v16
	v_fmac_f32_e32 v7, 0xbf167918, v15
	v_add_f32_e32 v5, v1, v25
	v_fmac_f32_e32 v9, 0x3e9e377a, v11
	v_fmac_f32_e32 v7, 0x3e9e377a, v11
	v_add_f32_e32 v11, v25, v13
	v_add_f32_e32 v5, v5, v27
	v_fma_f32 v1, -0.5, v11, v1
	v_add_f32_e32 v5, v5, v12
	v_mov_b32_e32 v11, v1
	v_add_f32_e32 v5, v5, v13
	v_fmac_f32_e32 v11, 0xbf737871, v15
	v_sub_f32_e32 v12, v12, v13
	v_fmac_f32_e32 v1, 0x3f737871, v15
	v_add_f32_e32 v13, v30, v36
	v_fmac_f32_e32 v11, 0x3f167918, v14
	v_sub_f32_e32 v16, v27, v25
	v_fmac_f32_e32 v1, 0xbf167918, v14
	v_fma_f32 v14, -0.5, v13, v2
	v_add_f32_e32 v12, v16, v12
	v_sub_f32_e32 v13, v29, v34
	v_mov_b32_e32 v16, v14
	v_fmac_f32_e32 v16, 0xbf737871, v13
	v_sub_f32_e32 v15, v31, v32
	v_sub_f32_e32 v18, v17, v30
	;; [unrolled: 1-line block ×3, first 2 shown]
	v_fmac_f32_e32 v14, 0x3f737871, v13
	v_fmac_f32_e32 v16, 0xbf167918, v15
	v_add_f32_e32 v18, v18, v19
	v_fmac_f32_e32 v14, 0x3f167918, v15
	v_fmac_f32_e32 v16, 0x3e9e377a, v18
	;; [unrolled: 1-line block ×3, first 2 shown]
	v_add_f32_e32 v18, v17, v33
	v_fmac_f32_e32 v11, 0x3e9e377a, v12
	v_fmac_f32_e32 v1, 0x3e9e377a, v12
	v_add_f32_e32 v12, v2, v17
	v_fma_f32 v2, -0.5, v18, v2
	v_mov_b32_e32 v18, v2
	v_fmac_f32_e32 v18, 0x3f737871, v15
	v_fmac_f32_e32 v2, 0xbf737871, v15
	v_add_f32_e32 v15, v31, v32
	v_sub_f32_e32 v19, v30, v17
	v_sub_f32_e32 v24, v36, v33
	v_fma_f32 v15, -0.5, v15, v3
	v_fmac_f32_e32 v18, 0xbf167918, v13
	v_add_f32_e32 v19, v19, v24
	v_fmac_f32_e32 v2, 0x3f167918, v13
	v_sub_f32_e32 v24, v17, v33
	v_mov_b32_e32 v17, v15
	v_fmac_f32_e32 v18, 0x3e9e377a, v19
	v_fmac_f32_e32 v2, 0x3e9e377a, v19
	;; [unrolled: 1-line block ×3, first 2 shown]
	v_sub_f32_e32 v25, v30, v36
	v_sub_f32_e32 v19, v29, v31
	;; [unrolled: 1-line block ×3, first 2 shown]
	v_fmac_f32_e32 v15, 0xbf737871, v24
	v_fmac_f32_e32 v17, 0x3f167918, v25
	v_add_f32_e32 v19, v19, v26
	v_fmac_f32_e32 v15, 0xbf167918, v25
	v_fmac_f32_e32 v17, 0x3e9e377a, v19
	;; [unrolled: 1-line block ×3, first 2 shown]
	v_add_f32_e32 v19, v29, v34
	v_add_f32_e32 v13, v3, v29
	v_fmac_f32_e32 v3, -0.5, v19
	v_mov_b32_e32 v19, v3
	v_add_f32_e32 v12, v12, v30
	v_add_f32_e32 v13, v13, v31
	v_fmac_f32_e32 v19, 0xbf737871, v25
	v_sub_f32_e32 v26, v31, v29
	v_sub_f32_e32 v27, v32, v34
	v_fmac_f32_e32 v3, 0x3f737871, v25
	v_add_f32_e32 v12, v12, v36
	v_add_f32_e32 v13, v13, v32
	v_fmac_f32_e32 v19, 0x3f167918, v24
	v_add_f32_e32 v26, v26, v27
	v_fmac_f32_e32 v3, 0xbf167918, v24
	v_add_f32_e32 v12, v12, v33
	v_add_f32_e32 v13, v13, v34
	v_fmac_f32_e32 v19, 0x3e9e377a, v26
	v_fmac_f32_e32 v3, 0x3e9e377a, v26
	s_barrier
	ds_write2_b64 v89, v[4:5], v[8:9] offset1:198
	ds_write2_b64 v20, v[10:11], v[0:1] offset0:12 offset1:210
	ds_write2_b64 v21, v[6:7], v[12:13] offset0:24 offset1:222
	;; [unrolled: 1-line block ×4, first 2 shown]
	s_waitcnt lgkmcnt(0)
	s_barrier
	ds_read2_b64 v[0:3], v21 offset0:24 offset1:222
	ds_read2_b64 v[4:7], v89 offset1:198
	ds_read2_b64 v[8:11], v22 offset0:36 offset1:234
	ds_read2_b64 v[12:15], v20 offset0:12 offset1:210
	;; [unrolled: 1-line block ×3, first 2 shown]
	s_waitcnt lgkmcnt(4)
	v_mul_f32_e32 v24, v72, v3
	v_fmac_f32_e32 v24, v71, v2
	v_mul_f32_e32 v2, v72, v2
	v_fma_f32 v3, v71, v3, -v2
	s_waitcnt lgkmcnt(2)
	v_mul_f32_e32 v2, v74, v8
	v_mul_f32_e32 v25, v74, v9
	v_fma_f32 v9, v73, v9, -v2
	v_mul_f32_e32 v2, v76, v10
	v_mul_f32_e32 v26, v76, v11
	v_fma_f32 v11, v75, v11, -v2
	s_waitcnt lgkmcnt(0)
	v_mul_f32_e32 v2, v78, v16
	v_fmac_f32_e32 v25, v73, v8
	v_mul_f32_e32 v27, v78, v17
	v_fma_f32 v17, v77, v17, -v2
	v_mul_f32_e32 v28, v80, v19
	v_mul_f32_e32 v2, v80, v18
	v_fmac_f32_e32 v26, v75, v10
	v_fmac_f32_e32 v27, v77, v16
	;; [unrolled: 1-line block ×3, first 2 shown]
	v_fma_f32 v19, v79, v19, -v2
	v_sub_f32_e32 v2, v4, v24
	v_sub_f32_e32 v3, v5, v3
	;; [unrolled: 1-line block ×4, first 2 shown]
	s_movk_i32 s2, 0x3000
	v_fma_f32 v4, v4, 2.0, -v2
	v_fma_f32 v5, v5, 2.0, -v3
	;; [unrolled: 1-line block ×4, first 2 shown]
	v_sub_f32_e32 v10, v12, v26
	v_sub_f32_e32 v11, v13, v11
	;; [unrolled: 1-line block ×6, first 2 shown]
	v_fma_f32 v12, v12, 2.0, -v10
	v_fma_f32 v13, v13, 2.0, -v11
	;; [unrolled: 1-line block ×6, first 2 shown]
	ds_write2_b64 v89, v[4:5], v[6:7] offset1:198
	ds_write2_b64 v22, v[8:9], v[10:11] offset0:36 offset1:234
	ds_write2_b64 v20, v[12:13], v[14:15] offset0:12 offset1:210
	;; [unrolled: 1-line block ×4, first 2 shown]
	s_waitcnt lgkmcnt(0)
	s_barrier
	s_and_b64 exec, exec, s[0:1]
	s_cbranch_execz .LBB0_31
; %bb.30:
	v_mov_b32_e32 v0, s11
	v_add_co_u32_e32 v36, vcc, s10, v87
	s_movk_i32 s0, 0x1000
	v_addc_co_u32_e32 v37, vcc, 0, v0, vcc
	v_add_co_u32_e32 v14, vcc, s0, v36
	v_addc_co_u32_e32 v15, vcc, 0, v37, vcc
	global_load_dwordx2 v[8:9], v87, s[10:11]
	global_load_dwordx2 v[10:11], v87, s[10:11] offset:1440
	global_load_dwordx2 v[12:13], v87, s[10:11] offset:2880
	global_load_dwordx2 v[16:17], v[14:15], off offset:224
	global_load_dwordx2 v[24:25], v[14:15], off offset:1664
	ds_read_b64 v[20:21], v89
	v_mad_u64_u32 v[18:19], s[0:1], s6, v60, 0
	v_mad_u64_u32 v[22:23], s[10:11], s4, v88, 0
	v_mov_b32_e32 v38, s9
	s_mul_i32 s6, s5, 0x5a0
	s_mul_hi_u32 s9, s4, 0x5a0
	s_mul_i32 s3, s4, 0x5a0
	s_movk_i32 s10, 0x2000
	s_add_i32 s4, s9, s6
	s_waitcnt lgkmcnt(0)
	v_mad_u64_u32 v[28:29], s[6:7], s7, v60, v[19:20]
	v_add_u32_e32 v0, 0x400, v87
	v_add_u32_e32 v4, 0x1000, v87
	v_add_co_u32_e32 v26, vcc, s10, v36
	ds_read2_b64 v[0:3], v0 offset0:52 offset1:232
	ds_read2_b64 v[4:7], v4 offset0:28 offset1:208
	v_addc_co_u32_e32 v27, vcc, 0, v37, vcc
	v_mov_b32_e32 v19, v28
	s_mov_b32 s0, 0xb37565e2
	s_mov_b32 s1, 0x3f408cab
	v_mov_b32_e32 v39, s4
	v_mov_b32_e32 v40, s4
	s_waitcnt vmcnt(0)
	v_mad_u64_u32 v[29:30], s[6:7], s5, v88, v[23:24]
	global_load_dwordx2 v[30:31], v[14:15], off offset:3104
	global_load_dwordx2 v[32:33], v[26:27], off offset:448
	;; [unrolled: 1-line block ×3, first 2 shown]
	v_lshlrev_b64 v[14:15], 3, v[18:19]
	v_mov_b32_e32 v23, v29
	v_lshlrev_b64 v[18:19], 3, v[22:23]
	v_add_co_u32_e32 v14, vcc, s8, v14
	v_addc_co_u32_e32 v15, vcc, v38, v15, vcc
	v_add_co_u32_e32 v14, vcc, v14, v18
	v_mul_f32_e32 v18, v21, v9
	v_mul_f32_e32 v9, v20, v9
	v_addc_co_u32_e32 v15, vcc, v15, v19, vcc
	s_waitcnt lgkmcnt(1)
	v_mul_f32_e32 v19, v1, v11
	v_mul_f32_e32 v11, v0, v11
	;; [unrolled: 1-line block ×4, first 2 shown]
	v_fmac_f32_e32 v18, v20, v8
	v_fma_f32 v8, v8, v21, -v9
	v_fmac_f32_e32 v19, v0, v10
	v_fma_f32 v10, v10, v1, -v11
	;; [unrolled: 2-line block ×3, first 2 shown]
	v_cvt_f64_f32_e32 v[0:1], v18
	v_cvt_f64_f32_e32 v[2:3], v8
	;; [unrolled: 1-line block ×4, first 2 shown]
	v_mul_f64 v[0:1], v[0:1], s[0:1]
	v_mul_f64 v[2:3], v[2:3], s[0:1]
	;; [unrolled: 1-line block ×4, first 2 shown]
	v_cvt_f64_f32_e32 v[12:13], v22
	v_cvt_f64_f32_e32 v[18:19], v20
	v_add_co_u32_e32 v22, vcc, s3, v14
	v_cvt_f32_f64_e32 v0, v[0:1]
	v_cvt_f32_f64_e32 v1, v[2:3]
	v_cvt_f32_f64_e32 v2, v[8:9]
	v_cvt_f32_f64_e32 v3, v[10:11]
	v_addc_co_u32_e32 v23, vcc, v15, v39, vcc
	global_store_dwordx2 v[14:15], v[0:1], off
	global_store_dwordx2 v[22:23], v[2:3], off
	s_waitcnt lgkmcnt(0)
	v_mul_f32_e32 v0, v4, v17
	v_mul_f32_e32 v20, v5, v17
	v_fma_f32 v0, v16, v5, -v0
	v_fmac_f32_e32 v20, v4, v16
	v_mul_f64 v[12:13], v[12:13], s[0:1]
	v_mul_f64 v[18:19], v[18:19], s[0:1]
	v_cvt_f64_f32_e32 v[0:1], v0
	global_load_dwordx2 v[4:5], v[26:27], off offset:3328
	v_cvt_f64_f32_e32 v[20:21], v20
	v_mul_f32_e32 v2, v7, v25
	v_mul_f64 v[0:1], v[0:1], s[0:1]
	v_fmac_f32_e32 v2, v6, v24
	v_mul_f64 v[20:21], v[20:21], s[0:1]
	v_mul_f32_e32 v6, v6, v25
	v_fma_f32 v6, v24, v7, -v6
	v_cvt_f32_f64_e32 v8, v[12:13]
	v_cvt_f32_f64_e32 v9, v[18:19]
	v_add_co_u32_e32 v10, vcc, s3, v22
	v_cvt_f64_f32_e32 v[2:3], v2
	v_cvt_f64_f32_e32 v[6:7], v6
	v_addc_co_u32_e32 v11, vcc, v23, v40, vcc
	v_add_co_u32_e32 v14, vcc, s2, v36
	v_addc_co_u32_e32 v15, vcc, 0, v37, vcc
	global_store_dwordx2 v[10:11], v[8:9], off
	v_cvt_f32_f64_e32 v9, v[0:1]
	v_mul_f64 v[12:13], v[2:3], s[0:1]
	v_mul_f64 v[6:7], v[6:7], s[0:1]
	global_load_dwordx2 v[16:17], v[14:15], off offset:672
	v_add_u32_e32 v0, 0x1c00, v87
	ds_read2_b64 v[0:3], v0 offset0:4 offset1:184
	v_cvt_f32_f64_e32 v8, v[20:21]
	v_mov_b32_e32 v18, s4
	v_add_co_u32_e32 v10, vcc, s3, v10
	v_addc_co_u32_e32 v11, vcc, v11, v18, vcc
	global_store_dwordx2 v[10:11], v[8:9], off
	s_waitcnt vmcnt(8) lgkmcnt(0)
	v_mul_f32_e32 v9, v1, v31
	v_fmac_f32_e32 v9, v0, v30
	v_cvt_f32_f64_e32 v8, v[12:13]
	v_cvt_f64_f32_e32 v[12:13], v9
	v_cvt_f32_f64_e32 v9, v[6:7]
	global_load_dwordx2 v[6:7], v[14:15], off offset:2112
	v_mul_f32_e32 v0, v0, v31
	v_fma_f32 v0, v30, v1, -v0
	v_cvt_f64_f32_e32 v[0:1], v0
	v_mov_b32_e32 v14, s4
	v_mul_f64 v[12:13], v[12:13], s[0:1]
	v_add_co_u32_e32 v10, vcc, s3, v10
	v_mul_f64 v[0:1], v[0:1], s[0:1]
	v_addc_co_u32_e32 v11, vcc, v11, v14, vcc
	global_store_dwordx2 v[10:11], v[8:9], off
	s_waitcnt vmcnt(9)
	v_mul_f32_e32 v9, v3, v33
	v_fmac_f32_e32 v9, v2, v32
	v_mul_f32_e32 v2, v2, v33
	v_fma_f32 v2, v32, v3, -v2
	v_cvt_f64_f32_e32 v[2:3], v2
	v_cvt_f32_f64_e32 v8, v[12:13]
	v_cvt_f64_f32_e32 v[12:13], v9
	v_cvt_f32_f64_e32 v9, v[0:1]
	v_add_u32_e32 v0, 0x2600, v87
	v_mul_f64 v[14:15], v[2:3], s[0:1]
	ds_read2_b64 v[0:3], v0 offset0:44 offset1:224
	v_add_co_u32_e32 v10, vcc, s3, v10
	v_addc_co_u32_e32 v11, vcc, v11, v18, vcc
	global_store_dwordx2 v[10:11], v[8:9], off
	s_waitcnt vmcnt(9) lgkmcnt(0)
	v_mul_f32_e32 v8, v1, v35
	v_fmac_f32_e32 v8, v0, v34
	v_cvt_f64_f32_e32 v[8:9], v8
	v_mul_f64 v[12:13], v[12:13], s[0:1]
	v_mul_f32_e32 v0, v0, v35
	v_fma_f32 v0, v34, v1, -v0
	v_mul_f64 v[8:9], v[8:9], s[0:1]
	v_cvt_f64_f32_e32 v[0:1], v0
	v_add_co_u32_e32 v10, vcc, s3, v10
	v_mul_f64 v[0:1], v[0:1], s[0:1]
	v_cvt_f32_f64_e32 v12, v[12:13]
	v_cvt_f32_f64_e32 v13, v[14:15]
	;; [unrolled: 1-line block ×3, first 2 shown]
	s_waitcnt vmcnt(6)
	v_mul_f32_e32 v9, v3, v5
	v_mov_b32_e32 v14, s4
	v_fmac_f32_e32 v9, v2, v4
	v_mul_f32_e32 v2, v2, v5
	v_addc_co_u32_e32 v11, vcc, v11, v14, vcc
	v_fma_f32 v2, v4, v3, -v2
	global_store_dwordx2 v[10:11], v[12:13], off
	v_cvt_f64_f32_e32 v[12:13], v9
	v_cvt_f64_f32_e32 v[2:3], v2
	v_cvt_f32_f64_e32 v9, v[0:1]
	v_mov_b32_e32 v0, s4
	v_add_co_u32_e32 v10, vcc, s3, v10
	v_addc_co_u32_e32 v11, vcc, v11, v0, vcc
	v_add_u32_e32 v0, 0x3200, v87
	v_mul_f64 v[4:5], v[12:13], s[0:1]
	v_mul_f64 v[12:13], v[2:3], s[0:1]
	ds_read2_b64 v[0:3], v0 offset0:20 offset1:200
	global_store_dwordx2 v[10:11], v[8:9], off
	v_add_co_u32_e32 v10, vcc, s3, v10
	s_waitcnt vmcnt(6) lgkmcnt(0)
	v_mul_f32_e32 v8, v1, v17
	v_fmac_f32_e32 v8, v0, v16
	v_mul_f32_e32 v0, v0, v17
	v_fma_f32 v0, v16, v1, -v0
	v_cvt_f32_f64_e32 v4, v[4:5]
	v_cvt_f32_f64_e32 v5, v[12:13]
	v_cvt_f64_f32_e32 v[8:9], v8
	v_cvt_f64_f32_e32 v[0:1], v0
	v_mov_b32_e32 v12, s4
	v_addc_co_u32_e32 v11, vcc, v11, v12, vcc
	global_store_dwordx2 v[10:11], v[4:5], off
	v_mul_f64 v[4:5], v[8:9], s[0:1]
	v_mul_f64 v[0:1], v[0:1], s[0:1]
	s_waitcnt vmcnt(5)
	v_mul_f32_e32 v8, v3, v7
	v_fmac_f32_e32 v8, v2, v6
	v_mul_f32_e32 v2, v2, v7
	v_fma_f32 v2, v6, v3, -v2
	v_cvt_f64_f32_e32 v[8:9], v8
	v_cvt_f64_f32_e32 v[2:3], v2
	v_cvt_f32_f64_e32 v4, v[4:5]
	v_cvt_f32_f64_e32 v5, v[0:1]
	v_mul_f64 v[0:1], v[8:9], s[0:1]
	v_mul_f64 v[2:3], v[2:3], s[0:1]
	v_mov_b32_e32 v7, s4
	v_add_co_u32_e32 v6, vcc, s3, v10
	v_addc_co_u32_e32 v7, vcc, v11, v7, vcc
	global_store_dwordx2 v[6:7], v[4:5], off
	v_cvt_f32_f64_e32 v0, v[0:1]
	v_cvt_f32_f64_e32 v1, v[2:3]
	v_mov_b32_e32 v3, s4
	v_add_co_u32_e32 v2, vcc, s3, v6
	v_addc_co_u32_e32 v3, vcc, v7, v3, vcc
	global_store_dwordx2 v[2:3], v[0:1], off
.LBB0_31:
	s_endpgm
	.section	.rodata,"a",@progbits
	.p2align	6, 0x0
	.amdhsa_kernel bluestein_single_fwd_len1980_dim1_sp_op_CI_CI
		.amdhsa_group_segment_fixed_size 15840
		.amdhsa_private_segment_fixed_size 0
		.amdhsa_kernarg_size 104
		.amdhsa_user_sgpr_count 6
		.amdhsa_user_sgpr_private_segment_buffer 1
		.amdhsa_user_sgpr_dispatch_ptr 0
		.amdhsa_user_sgpr_queue_ptr 0
		.amdhsa_user_sgpr_kernarg_segment_ptr 1
		.amdhsa_user_sgpr_dispatch_id 0
		.amdhsa_user_sgpr_flat_scratch_init 0
		.amdhsa_user_sgpr_private_segment_size 0
		.amdhsa_uses_dynamic_stack 0
		.amdhsa_system_sgpr_private_segment_wavefront_offset 0
		.amdhsa_system_sgpr_workgroup_id_x 1
		.amdhsa_system_sgpr_workgroup_id_y 0
		.amdhsa_system_sgpr_workgroup_id_z 0
		.amdhsa_system_sgpr_workgroup_info 0
		.amdhsa_system_vgpr_workitem_id 0
		.amdhsa_next_free_vgpr 174
		.amdhsa_next_free_sgpr 19
		.amdhsa_reserve_vcc 1
		.amdhsa_reserve_flat_scratch 0
		.amdhsa_float_round_mode_32 0
		.amdhsa_float_round_mode_16_64 0
		.amdhsa_float_denorm_mode_32 3
		.amdhsa_float_denorm_mode_16_64 3
		.amdhsa_dx10_clamp 1
		.amdhsa_ieee_mode 1
		.amdhsa_fp16_overflow 0
		.amdhsa_exception_fp_ieee_invalid_op 0
		.amdhsa_exception_fp_denorm_src 0
		.amdhsa_exception_fp_ieee_div_zero 0
		.amdhsa_exception_fp_ieee_overflow 0
		.amdhsa_exception_fp_ieee_underflow 0
		.amdhsa_exception_fp_ieee_inexact 0
		.amdhsa_exception_int_div_zero 0
	.end_amdhsa_kernel
	.text
.Lfunc_end0:
	.size	bluestein_single_fwd_len1980_dim1_sp_op_CI_CI, .Lfunc_end0-bluestein_single_fwd_len1980_dim1_sp_op_CI_CI
                                        ; -- End function
	.section	.AMDGPU.csdata,"",@progbits
; Kernel info:
; codeLenInByte = 14120
; NumSgprs: 23
; NumVgprs: 174
; ScratchSize: 0
; MemoryBound: 0
; FloatMode: 240
; IeeeMode: 1
; LDSByteSize: 15840 bytes/workgroup (compile time only)
; SGPRBlocks: 2
; VGPRBlocks: 43
; NumSGPRsForWavesPerEU: 23
; NumVGPRsForWavesPerEU: 174
; Occupancy: 1
; WaveLimiterHint : 1
; COMPUTE_PGM_RSRC2:SCRATCH_EN: 0
; COMPUTE_PGM_RSRC2:USER_SGPR: 6
; COMPUTE_PGM_RSRC2:TRAP_HANDLER: 0
; COMPUTE_PGM_RSRC2:TGID_X_EN: 1
; COMPUTE_PGM_RSRC2:TGID_Y_EN: 0
; COMPUTE_PGM_RSRC2:TGID_Z_EN: 0
; COMPUTE_PGM_RSRC2:TIDIG_COMP_CNT: 0
	.type	__hip_cuid_f259d23e01ee74f2,@object ; @__hip_cuid_f259d23e01ee74f2
	.section	.bss,"aw",@nobits
	.globl	__hip_cuid_f259d23e01ee74f2
__hip_cuid_f259d23e01ee74f2:
	.byte	0                               ; 0x0
	.size	__hip_cuid_f259d23e01ee74f2, 1

	.ident	"AMD clang version 19.0.0git (https://github.com/RadeonOpenCompute/llvm-project roc-6.4.0 25133 c7fe45cf4b819c5991fe208aaa96edf142730f1d)"
	.section	".note.GNU-stack","",@progbits
	.addrsig
	.addrsig_sym __hip_cuid_f259d23e01ee74f2
	.amdgpu_metadata
---
amdhsa.kernels:
  - .args:
      - .actual_access:  read_only
        .address_space:  global
        .offset:         0
        .size:           8
        .value_kind:     global_buffer
      - .actual_access:  read_only
        .address_space:  global
        .offset:         8
        .size:           8
        .value_kind:     global_buffer
      - .actual_access:  read_only
        .address_space:  global
        .offset:         16
        .size:           8
        .value_kind:     global_buffer
      - .actual_access:  read_only
        .address_space:  global
        .offset:         24
        .size:           8
        .value_kind:     global_buffer
      - .actual_access:  read_only
        .address_space:  global
        .offset:         32
        .size:           8
        .value_kind:     global_buffer
      - .offset:         40
        .size:           8
        .value_kind:     by_value
      - .address_space:  global
        .offset:         48
        .size:           8
        .value_kind:     global_buffer
      - .address_space:  global
        .offset:         56
        .size:           8
        .value_kind:     global_buffer
      - .address_space:  global
        .offset:         64
        .size:           8
        .value_kind:     global_buffer
      - .address_space:  global
        .offset:         72
        .size:           8
        .value_kind:     global_buffer
      - .offset:         80
        .size:           4
        .value_kind:     by_value
      - .address_space:  global
        .offset:         88
        .size:           8
        .value_kind:     global_buffer
      - .address_space:  global
        .offset:         96
        .size:           8
        .value_kind:     global_buffer
    .group_segment_fixed_size: 15840
    .kernarg_segment_align: 8
    .kernarg_segment_size: 104
    .language:       OpenCL C
    .language_version:
      - 2
      - 0
    .max_flat_workgroup_size: 198
    .name:           bluestein_single_fwd_len1980_dim1_sp_op_CI_CI
    .private_segment_fixed_size: 0
    .sgpr_count:     23
    .sgpr_spill_count: 0
    .symbol:         bluestein_single_fwd_len1980_dim1_sp_op_CI_CI.kd
    .uniform_work_group_size: 1
    .uses_dynamic_stack: false
    .vgpr_count:     174
    .vgpr_spill_count: 0
    .wavefront_size: 64
amdhsa.target:   amdgcn-amd-amdhsa--gfx906
amdhsa.version:
  - 1
  - 2
...

	.end_amdgpu_metadata
